;; amdgpu-corpus repo=ROCm/rocFFT kind=compiled arch=gfx906 opt=O3
	.text
	.amdgcn_target "amdgcn-amd-amdhsa--gfx906"
	.amdhsa_code_object_version 6
	.protected	fft_rtc_fwd_len480_factors_10_8_6_wgs_64_tpt_16_halfLds_dp_ip_CI_unitstride_sbrr_dirReg ; -- Begin function fft_rtc_fwd_len480_factors_10_8_6_wgs_64_tpt_16_halfLds_dp_ip_CI_unitstride_sbrr_dirReg
	.globl	fft_rtc_fwd_len480_factors_10_8_6_wgs_64_tpt_16_halfLds_dp_ip_CI_unitstride_sbrr_dirReg
	.p2align	8
	.type	fft_rtc_fwd_len480_factors_10_8_6_wgs_64_tpt_16_halfLds_dp_ip_CI_unitstride_sbrr_dirReg,@function
fft_rtc_fwd_len480_factors_10_8_6_wgs_64_tpt_16_halfLds_dp_ip_CI_unitstride_sbrr_dirReg: ; @fft_rtc_fwd_len480_factors_10_8_6_wgs_64_tpt_16_halfLds_dp_ip_CI_unitstride_sbrr_dirReg
; %bb.0:
	s_load_dwordx2 s[12:13], s[4:5], 0x50
	s_load_dwordx4 s[8:11], s[4:5], 0x0
	s_load_dwordx2 s[2:3], s[4:5], 0x18
	v_lshrrev_b32_e32 v9, 4, v0
	v_mov_b32_e32 v3, 0
	v_mov_b32_e32 v1, 0
	s_waitcnt lgkmcnt(0)
	v_cmp_lt_u64_e64 s[0:1], s[10:11], 2
	v_lshl_or_b32 v5, s6, 2, v9
	v_mov_b32_e32 v6, v3
	s_and_b64 vcc, exec, s[0:1]
	v_mov_b32_e32 v2, 0
	s_cbranch_vccnz .LBB0_8
; %bb.1:
	s_load_dwordx2 s[0:1], s[4:5], 0x10
	s_add_u32 s6, s2, 8
	s_addc_u32 s7, s3, 0
	v_mov_b32_e32 v1, 0
	v_mov_b32_e32 v2, 0
	s_waitcnt lgkmcnt(0)
	s_add_u32 s14, s0, 8
	s_addc_u32 s15, s1, 0
	s_mov_b64 s[16:17], 1
.LBB0_2:                                ; =>This Inner Loop Header: Depth=1
	s_load_dwordx2 s[18:19], s[14:15], 0x0
                                        ; implicit-def: $vgpr7_vgpr8
	s_waitcnt lgkmcnt(0)
	v_or_b32_e32 v4, s19, v6
	v_cmp_ne_u64_e32 vcc, 0, v[3:4]
	s_and_saveexec_b64 s[0:1], vcc
	s_xor_b64 s[20:21], exec, s[0:1]
	s_cbranch_execz .LBB0_4
; %bb.3:                                ;   in Loop: Header=BB0_2 Depth=1
	v_cvt_f32_u32_e32 v4, s18
	v_cvt_f32_u32_e32 v7, s19
	s_sub_u32 s0, 0, s18
	s_subb_u32 s1, 0, s19
	v_mac_f32_e32 v4, 0x4f800000, v7
	v_rcp_f32_e32 v4, v4
	v_mul_f32_e32 v4, 0x5f7ffffc, v4
	v_mul_f32_e32 v7, 0x2f800000, v4
	v_trunc_f32_e32 v7, v7
	v_mac_f32_e32 v4, 0xcf800000, v7
	v_cvt_u32_f32_e32 v7, v7
	v_cvt_u32_f32_e32 v4, v4
	v_mul_lo_u32 v8, s0, v7
	v_mul_hi_u32 v10, s0, v4
	v_mul_lo_u32 v12, s1, v4
	v_mul_lo_u32 v11, s0, v4
	v_add_u32_e32 v8, v10, v8
	v_add_u32_e32 v8, v8, v12
	v_mul_hi_u32 v10, v4, v11
	v_mul_lo_u32 v12, v4, v8
	v_mul_hi_u32 v14, v4, v8
	v_mul_hi_u32 v13, v7, v11
	v_mul_lo_u32 v11, v7, v11
	v_mul_hi_u32 v15, v7, v8
	v_add_co_u32_e32 v10, vcc, v10, v12
	v_addc_co_u32_e32 v12, vcc, 0, v14, vcc
	v_mul_lo_u32 v8, v7, v8
	v_add_co_u32_e32 v10, vcc, v10, v11
	v_addc_co_u32_e32 v10, vcc, v12, v13, vcc
	v_addc_co_u32_e32 v11, vcc, 0, v15, vcc
	v_add_co_u32_e32 v8, vcc, v10, v8
	v_addc_co_u32_e32 v10, vcc, 0, v11, vcc
	v_add_co_u32_e32 v4, vcc, v4, v8
	v_addc_co_u32_e32 v7, vcc, v7, v10, vcc
	v_mul_lo_u32 v8, s0, v7
	v_mul_hi_u32 v10, s0, v4
	v_mul_lo_u32 v11, s1, v4
	v_mul_lo_u32 v12, s0, v4
	v_add_u32_e32 v8, v10, v8
	v_add_u32_e32 v8, v8, v11
	v_mul_lo_u32 v13, v4, v8
	v_mul_hi_u32 v14, v4, v12
	v_mul_hi_u32 v15, v4, v8
	;; [unrolled: 1-line block ×3, first 2 shown]
	v_mul_lo_u32 v12, v7, v12
	v_mul_hi_u32 v10, v7, v8
	v_add_co_u32_e32 v13, vcc, v14, v13
	v_addc_co_u32_e32 v14, vcc, 0, v15, vcc
	v_mul_lo_u32 v8, v7, v8
	v_add_co_u32_e32 v12, vcc, v13, v12
	v_addc_co_u32_e32 v11, vcc, v14, v11, vcc
	v_addc_co_u32_e32 v10, vcc, 0, v10, vcc
	v_add_co_u32_e32 v8, vcc, v11, v8
	v_addc_co_u32_e32 v10, vcc, 0, v10, vcc
	v_add_co_u32_e32 v4, vcc, v4, v8
	v_addc_co_u32_e32 v10, vcc, v7, v10, vcc
	v_mad_u64_u32 v[7:8], s[0:1], v5, v10, 0
	v_mul_hi_u32 v11, v5, v4
	v_add_co_u32_e32 v12, vcc, v11, v7
	v_addc_co_u32_e32 v13, vcc, 0, v8, vcc
	v_mad_u64_u32 v[7:8], s[0:1], v6, v4, 0
	v_mad_u64_u32 v[10:11], s[0:1], v6, v10, 0
	v_add_co_u32_e32 v4, vcc, v12, v7
	v_addc_co_u32_e32 v4, vcc, v13, v8, vcc
	v_addc_co_u32_e32 v7, vcc, 0, v11, vcc
	v_add_co_u32_e32 v4, vcc, v4, v10
	v_addc_co_u32_e32 v10, vcc, 0, v7, vcc
	v_mul_lo_u32 v11, s19, v4
	v_mul_lo_u32 v12, s18, v10
	v_mad_u64_u32 v[7:8], s[0:1], s18, v4, 0
	v_add3_u32 v8, v8, v12, v11
	v_sub_u32_e32 v11, v6, v8
	v_mov_b32_e32 v12, s19
	v_sub_co_u32_e32 v7, vcc, v5, v7
	v_subb_co_u32_e64 v11, s[0:1], v11, v12, vcc
	v_subrev_co_u32_e64 v12, s[0:1], s18, v7
	v_subbrev_co_u32_e64 v11, s[0:1], 0, v11, s[0:1]
	v_cmp_le_u32_e64 s[0:1], s19, v11
	v_cndmask_b32_e64 v13, 0, -1, s[0:1]
	v_cmp_le_u32_e64 s[0:1], s18, v12
	v_cndmask_b32_e64 v12, 0, -1, s[0:1]
	v_cmp_eq_u32_e64 s[0:1], s19, v11
	v_cndmask_b32_e64 v11, v13, v12, s[0:1]
	v_add_co_u32_e64 v12, s[0:1], 2, v4
	v_addc_co_u32_e64 v13, s[0:1], 0, v10, s[0:1]
	v_add_co_u32_e64 v14, s[0:1], 1, v4
	v_addc_co_u32_e64 v15, s[0:1], 0, v10, s[0:1]
	v_subb_co_u32_e32 v8, vcc, v6, v8, vcc
	v_cmp_ne_u32_e64 s[0:1], 0, v11
	v_cmp_le_u32_e32 vcc, s19, v8
	v_cndmask_b32_e64 v11, v15, v13, s[0:1]
	v_cndmask_b32_e64 v13, 0, -1, vcc
	v_cmp_le_u32_e32 vcc, s18, v7
	v_cndmask_b32_e64 v7, 0, -1, vcc
	v_cmp_eq_u32_e32 vcc, s19, v8
	v_cndmask_b32_e32 v7, v13, v7, vcc
	v_cmp_ne_u32_e32 vcc, 0, v7
	v_cndmask_b32_e64 v7, v14, v12, s[0:1]
	v_cndmask_b32_e32 v8, v10, v11, vcc
	v_cndmask_b32_e32 v7, v4, v7, vcc
.LBB0_4:                                ;   in Loop: Header=BB0_2 Depth=1
	s_andn2_saveexec_b64 s[0:1], s[20:21]
	s_cbranch_execz .LBB0_6
; %bb.5:                                ;   in Loop: Header=BB0_2 Depth=1
	v_cvt_f32_u32_e32 v4, s18
	s_sub_i32 s20, 0, s18
	v_rcp_iflag_f32_e32 v4, v4
	v_mul_f32_e32 v4, 0x4f7ffffe, v4
	v_cvt_u32_f32_e32 v4, v4
	v_mul_lo_u32 v7, s20, v4
	v_mul_hi_u32 v7, v4, v7
	v_add_u32_e32 v4, v4, v7
	v_mul_hi_u32 v4, v5, v4
	v_mul_lo_u32 v7, v4, s18
	v_add_u32_e32 v8, 1, v4
	v_sub_u32_e32 v7, v5, v7
	v_subrev_u32_e32 v10, s18, v7
	v_cmp_le_u32_e32 vcc, s18, v7
	v_cndmask_b32_e32 v7, v7, v10, vcc
	v_cndmask_b32_e32 v4, v4, v8, vcc
	v_add_u32_e32 v8, 1, v4
	v_cmp_le_u32_e32 vcc, s18, v7
	v_cndmask_b32_e32 v7, v4, v8, vcc
	v_mov_b32_e32 v8, v3
.LBB0_6:                                ;   in Loop: Header=BB0_2 Depth=1
	s_or_b64 exec, exec, s[0:1]
	v_mul_lo_u32 v4, v8, s18
	v_mul_lo_u32 v12, v7, s19
	v_mad_u64_u32 v[10:11], s[0:1], v7, s18, 0
	s_load_dwordx2 s[0:1], s[6:7], 0x0
	s_add_u32 s16, s16, 1
	v_add3_u32 v4, v11, v12, v4
	v_sub_co_u32_e32 v5, vcc, v5, v10
	v_subb_co_u32_e32 v4, vcc, v6, v4, vcc
	s_waitcnt lgkmcnt(0)
	v_mul_lo_u32 v4, s0, v4
	v_mul_lo_u32 v6, s1, v5
	v_mad_u64_u32 v[1:2], s[0:1], s0, v5, v[1:2]
	s_addc_u32 s17, s17, 0
	s_add_u32 s6, s6, 8
	v_add3_u32 v2, v6, v2, v4
	v_mov_b32_e32 v4, s10
	v_mov_b32_e32 v5, s11
	s_addc_u32 s7, s7, 0
	v_cmp_ge_u64_e32 vcc, s[16:17], v[4:5]
	s_add_u32 s14, s14, 8
	s_addc_u32 s15, s15, 0
	s_cbranch_vccnz .LBB0_9
; %bb.7:                                ;   in Loop: Header=BB0_2 Depth=1
	v_mov_b32_e32 v5, v7
	v_mov_b32_e32 v6, v8
	s_branch .LBB0_2
.LBB0_8:
	v_mov_b32_e32 v8, v6
	v_mov_b32_e32 v7, v5
.LBB0_9:
	s_lshl_b64 s[0:1], s[10:11], 3
	s_add_u32 s0, s2, s0
	s_addc_u32 s1, s3, s1
	s_load_dwordx2 s[2:3], s[0:1], 0x0
	s_load_dwordx2 s[6:7], s[4:5], 0x20
	v_and_b32_e32 v203, 15, v0
	v_or_b32_e32 v204, 16, v203
	v_or_b32_e32 v205, 32, v203
	s_waitcnt lgkmcnt(0)
	v_mul_lo_u32 v3, s2, v8
	v_mul_lo_u32 v4, s3, v7
	v_mad_u64_u32 v[1:2], s[0:1], s2, v7, v[1:2]
	v_cmp_gt_u64_e32 vcc, s[6:7], v[7:8]
	v_cmp_le_u64_e64 s[0:1], s[6:7], v[7:8]
	v_add3_u32 v2, v4, v2, v3
	v_or_b32_e32 v206, 48, v203
	s_and_saveexec_b64 s[2:3], s[0:1]
	s_xor_b64 s[0:1], exec, s[2:3]
; %bb.10:
	v_or_b32_e32 v204, 16, v203
	v_or_b32_e32 v205, 32, v203
	;; [unrolled: 1-line block ×3, first 2 shown]
; %bb.11:
	s_or_saveexec_b64 s[2:3], s[0:1]
	v_lshlrev_b64 v[174:175], 4, v[1:2]
	v_lshlrev_b32_e32 v202, 4, v203
                                        ; implicit-def: $vgpr148_vgpr149
                                        ; implicit-def: $vgpr152_vgpr153
                                        ; implicit-def: $vgpr70_vgpr71
                                        ; implicit-def: $vgpr26_vgpr27
                                        ; implicit-def: $vgpr34_vgpr35
                                        ; implicit-def: $vgpr126_vgpr127
                                        ; implicit-def: $vgpr18_vgpr19
                                        ; implicit-def: $vgpr30_vgpr31
                                        ; implicit-def: $vgpr62_vgpr63
                                        ; implicit-def: $vgpr122_vgpr123
                                        ; implicit-def: $vgpr110_vgpr111
                                        ; implicit-def: $vgpr86_vgpr87
                                        ; implicit-def: $vgpr94_vgpr95
                                        ; implicit-def: $vgpr90_vgpr91
                                        ; implicit-def: $vgpr106_vgpr107
                                        ; implicit-def: $vgpr82_vgpr83
                                        ; implicit-def: $vgpr118_vgpr119
                                        ; implicit-def: $vgpr98_vgpr99
                                        ; implicit-def: $vgpr114_vgpr115
                                        ; implicit-def: $vgpr102_vgpr103
                                        ; implicit-def: $vgpr66_vgpr67
                                        ; implicit-def: $vgpr58_vgpr59
                                        ; implicit-def: $vgpr54_vgpr55
                                        ; implicit-def: $vgpr130_vgpr131
                                        ; implicit-def: $vgpr22_vgpr23
                                        ; implicit-def: $vgpr46_vgpr47
                                        ; implicit-def: $vgpr42_vgpr43
                                        ; implicit-def: $vgpr156_vgpr157
                                        ; implicit-def: $vgpr78_vgpr79
                                        ; implicit-def: $vgpr74_vgpr75
	s_xor_b64 exec, exec, s[2:3]
	s_cbranch_execz .LBB0_13
; %bb.12:
	v_mov_b32_e32 v0, s13
	v_add_co_u32_e64 v8, s[0:1], s12, v174
	v_addc_co_u32_e64 v15, s[0:1], v0, v175, s[0:1]
	v_add_co_u32_e64 v0, s[0:1], v8, v202
	v_addc_co_u32_e64 v1, s[0:1], 0, v15, s[0:1]
	v_or_b32_e32 v2, 0x1200, v202
	v_add_co_u32_e64 v2, s[0:1], v8, v2
	v_addc_co_u32_e64 v3, s[0:1], 0, v15, s[0:1]
	v_or_b32_e32 v4, 0x1500, v202
	v_add_co_u32_e64 v4, s[0:1], v8, v4
	v_addc_co_u32_e64 v5, s[0:1], 0, v15, s[0:1]
	global_load_dwordx4 v[24:27], v[2:3], off
	global_load_dwordx4 v[40:43], v[4:5], off
	v_or_b32_e32 v2, 0x1800, v202
	v_add_co_u32_e64 v2, s[0:1], v8, v2
	v_addc_co_u32_e64 v3, s[0:1], 0, v15, s[0:1]
	v_or_b32_e32 v4, 0x1b00, v202
	v_add_co_u32_e64 v4, s[0:1], v8, v4
	v_addc_co_u32_e64 v5, s[0:1], 0, v15, s[0:1]
	global_load_dwordx4 v[44:47], v[2:3], off
	global_load_dwordx4 v[32:35], v[4:5], off
	;; [unrolled: 1-line block ×3, first 2 shown]
	global_load_dwordx4 v[20:23], v[0:1], off offset:256
	global_load_dwordx4 v[76:79], v[0:1], off offset:1536
	;; [unrolled: 1-line block ×5, first 2 shown]
	v_or_b32_e32 v2, 0x1000, v202
	v_add_co_u32_e64 v2, s[0:1], v8, v2
	v_addc_co_u32_e64 v3, s[0:1], 0, v15, s[0:1]
	v_or_b32_e32 v4, 0x1300, v202
	v_add_co_u32_e64 v4, s[0:1], v8, v4
	v_addc_co_u32_e64 v5, s[0:1], 0, v15, s[0:1]
	global_load_dwordx4 v[52:55], v[2:3], off
	global_load_dwordx4 v[56:59], v[4:5], off
	v_or_b32_e32 v2, 0x1600, v202
	v_add_co_u32_e64 v2, s[0:1], v8, v2
	v_addc_co_u32_e64 v3, s[0:1], 0, v15, s[0:1]
	v_or_b32_e32 v4, 0x1900, v202
	v_add_co_u32_e64 v4, s[0:1], v8, v4
	v_addc_co_u32_e64 v5, s[0:1], 0, v15, s[0:1]
	global_load_dwordx4 v[60:63], v[2:3], off
	global_load_dwordx4 v[64:67], v[4:5], off
	v_or_b32_e32 v2, 0x1c00, v202
	v_add_co_u32_e64 v2, s[0:1], v8, v2
	v_addc_co_u32_e64 v3, s[0:1], 0, v15, s[0:1]
	v_or_b32_e32 v4, 0x1100, v202
	v_add_co_u32_e64 v4, s[0:1], v8, v4
	v_addc_co_u32_e64 v5, s[0:1], 0, v15, s[0:1]
	;; [unrolled: 3-line block ×6, first 2 shown]
	global_load_dwordx4 v[146:149], v[0:1], off offset:768
	global_load_dwordx4 v[108:111], v[0:1], off offset:512
	;; [unrolled: 1-line block ×10, first 2 shown]
	global_load_dwordx4 v[120:123], v[2:3], off
	global_load_dwordx4 v[92:95], v[4:5], off
                                        ; kill: killed $vgpr4 killed $vgpr5
                                        ; kill: killed $vgpr0 killed $vgpr1
                                        ; kill: killed $vgpr2 killed $vgpr3
	global_load_dwordx4 v[116:119], v[6:7], off
	global_load_dwordx4 v[88:91], v[10:11], off
                                        ; kill: killed $vgpr10 killed $vgpr11
                                        ; kill: killed $vgpr6 killed $vgpr7
	global_load_dwordx4 v[104:107], v[12:13], off
	global_load_dwordx4 v[80:83], v[14:15], off
.LBB0_13:
	s_or_b64 exec, exec, s[2:3]
	s_waitcnt vmcnt(21)
	v_add_f64 v[0:1], v[68:69], v[24:25]
	v_mul_u32_u24_e32 v8, 0x1e0, v9
	v_add_f64 v[4:5], v[78:79], -v[46:47]
	v_add_f64 v[9:10], v[76:77], -v[68:69]
	;; [unrolled: 1-line block ×3, first 2 shown]
	v_add_f64 v[13:14], v[44:45], v[76:77]
	s_mov_b32 s14, 0x134454ff
	s_mov_b32 s15, 0x3fee6f0e
	v_fma_f64 v[0:1], v[0:1], -0.5, v[72:73]
	s_mov_b32 s7, 0xbfee6f0e
	s_mov_b32 s6, s14
	v_add_f64 v[6:7], v[70:71], -v[26:27]
	v_add_f64 v[9:10], v[11:12], v[9:10]
	v_fma_f64 v[11:12], v[13:14], -0.5, v[72:73]
	s_waitcnt vmcnt(7)
	v_add_f64 v[48:49], v[40:41], v[154:155]
	s_mov_b32 s4, 0x4755a5e
	v_fma_f64 v[36:37], v[4:5], s[14:15], v[0:1]
	v_fma_f64 v[0:1], v[4:5], s[6:7], v[0:1]
	s_mov_b32 s5, 0x3fe2cf23
	s_mov_b32 s11, 0xbfe2cf23
	;; [unrolled: 1-line block ×3, first 2 shown]
	v_add_f64 v[2:3], v[76:77], v[72:73]
	v_add_f64 v[38:39], v[146:147], v[150:151]
	v_fma_f64 v[50:51], v[6:7], s[6:7], v[11:12]
	v_fma_f64 v[13:14], v[6:7], s[4:5], v[36:37]
	v_add_f64 v[36:37], v[68:69], -v[76:77]
	v_fma_f64 v[0:1], v[6:7], s[10:11], v[0:1]
	v_add_f64 v[72:73], v[24:25], -v[44:45]
	v_fma_f64 v[6:7], v[6:7], s[14:15], v[11:12]
	v_fma_f64 v[11:12], v[48:49], -0.5, v[146:147]
	v_add_f64 v[48:49], v[150:151], v[32:33]
	s_mov_b32 s2, 0x372fe950
	s_mov_b32 s3, 0x3fd3c6ef
	v_fma_f64 v[13:14], v[9:10], s[2:3], v[13:14]
	v_add_f64 v[132:133], v[152:153], -v[34:35]
	v_fma_f64 v[0:1], v[9:10], s[2:3], v[0:1]
	v_add_f64 v[9:10], v[38:39], v[154:155]
	v_fma_f64 v[38:39], v[4:5], s[4:5], v[50:51]
	v_add_f64 v[50:51], v[72:73], v[36:37]
	v_fma_f64 v[4:5], v[4:5], s[10:11], v[6:7]
	v_add_f64 v[6:7], v[156:157], -v[42:43]
	v_fma_f64 v[36:37], v[48:49], -0.5, v[146:147]
	v_add_f64 v[72:73], v[42:43], v[156:157]
	v_add_f64 v[136:137], v[152:153], v[34:35]
	v_fma_f64 v[48:49], v[132:133], s[14:15], v[11:12]
	v_add_f64 v[134:135], v[150:151], -v[154:155]
	v_add_f64 v[138:139], v[32:33], -v[40:41]
	v_fma_f64 v[11:12], v[132:133], s[6:7], v[11:12]
	v_add_f64 v[142:143], v[150:151], -v[32:33]
	v_fma_f64 v[140:141], v[6:7], s[6:7], v[36:37]
	v_fma_f64 v[72:73], v[72:73], -0.5, v[148:149]
	v_add_f64 v[144:145], v[154:155], -v[40:41]
	v_fma_f64 v[136:137], v[136:137], -0.5, v[148:149]
	v_add_f64 v[9:10], v[40:41], v[9:10]
	v_fma_f64 v[48:49], v[6:7], s[4:5], v[48:49]
	v_add_f64 v[134:135], v[138:139], v[134:135]
	v_fma_f64 v[11:12], v[6:7], s[10:11], v[11:12]
	v_fma_f64 v[138:139], v[132:133], s[4:5], v[140:141]
	v_add_f64 v[140:141], v[154:155], -v[150:151]
	v_add_f64 v[40:41], v[40:41], -v[32:33]
	v_fma_f64 v[6:7], v[6:7], s[14:15], v[36:37]
	v_fma_f64 v[36:37], v[142:143], s[6:7], v[72:73]
	;; [unrolled: 1-line block ×3, first 2 shown]
	v_add_f64 v[150:151], v[156:157], -v[152:153]
	v_add_f64 v[154:155], v[42:43], -v[34:35]
	v_add_f64 v[158:159], v[152:153], -v[156:157]
	v_add_f64 v[160:161], v[34:35], -v[42:43]
	v_add_f64 v[2:3], v[68:69], v[2:3]
	v_fma_f64 v[72:73], v[142:143], s[14:15], v[72:73]
	v_fma_f64 v[136:137], v[144:145], s[6:7], v[136:137]
	v_add_f64 v[40:41], v[40:41], v[140:141]
	v_fma_f64 v[6:7], v[132:133], s[10:11], v[6:7]
	v_fma_f64 v[132:133], v[142:143], s[10:11], v[146:147]
	v_add_f64 v[140:141], v[154:155], v[150:151]
	v_fma_f64 v[146:147], v[144:145], s[10:11], v[36:37]
	v_add_f64 v[154:155], v[160:161], v[158:159]
	v_fma_f64 v[180:181], v[134:135], s[2:3], v[48:49]
	s_mov_b32 s16, 0x9b97f4a8
	s_mov_b32 s17, 0x3fe9e377
	v_add_f64 v[2:3], v[24:25], v[2:3]
	v_fma_f64 v[144:145], v[144:145], s[4:5], v[72:73]
	v_fma_f64 v[136:137], v[142:143], s[4:5], v[136:137]
	;; [unrolled: 1-line block ×6, first 2 shown]
	v_mul_f64 v[6:7], v[180:181], s[16:17]
	v_fma_f64 v[138:139], v[50:51], s[2:3], v[38:39]
	v_add_f64 v[38:39], v[28:29], v[56:57]
	v_add_f64 v[2:3], v[44:45], v[2:3]
	v_fma_f64 v[36:37], v[134:135], s[2:3], v[11:12]
	v_fma_f64 v[154:155], v[154:155], s[2:3], v[144:145]
	;; [unrolled: 1-line block ×3, first 2 shown]
	v_mul_f64 v[11:12], v[72:73], s[14:15]
	v_mul_f64 v[40:41], v[48:49], s[2:3]
	v_add_f64 v[32:33], v[32:33], v[9:10]
	v_fma_f64 v[6:7], v[150:151], s[4:5], v[6:7]
	v_add_f64 v[136:137], v[16:17], v[20:21]
	v_fma_f64 v[144:145], v[38:39], -0.5, v[20:21]
	v_add_f64 v[146:147], v[18:19], -v[66:67]
	v_add_f64 v[158:159], v[16:17], v[64:65]
	v_fma_f64 v[4:5], v[50:51], s[2:3], v[4:5]
	v_fma_f64 v[50:51], v[178:179], s[2:3], v[11:12]
	v_fma_f64 v[140:141], v[176:177], s[14:15], -v[40:41]
	v_add_f64 v[9:10], v[32:33], v[2:3]
	v_add_f64 v[11:12], v[13:14], v[6:7]
	v_add_f64 v[134:135], v[2:3], -v[32:33]
	v_add_f64 v[2:3], v[28:29], v[136:137]
	v_fma_f64 v[32:33], v[146:147], s[14:15], v[144:145]
	v_add_f64 v[160:161], v[30:31], -v[58:59]
	v_add_f64 v[162:163], v[16:17], -v[28:29]
	;; [unrolled: 1-line block ×3, first 2 shown]
	v_fma_f64 v[144:145], v[146:147], s[6:7], v[144:145]
	v_add_f64 v[136:137], v[13:14], -v[6:7]
	v_fma_f64 v[6:7], v[158:159], -0.5, v[20:21]
	v_mul_f64 v[132:133], v[36:37], s[16:17]
	v_add_f64 v[40:41], v[140:141], v[4:5]
	v_add_f64 v[140:141], v[4:5], -v[140:141]
	v_fma_f64 v[4:5], v[160:161], s[4:5], v[32:33]
	v_add_f64 v[13:14], v[162:163], v[164:165]
	v_fma_f64 v[20:21], v[160:161], s[10:11], v[144:145]
	v_add_f64 v[2:3], v[56:57], v[2:3]
	v_fma_f64 v[32:33], v[160:161], s[6:7], v[6:7]
	v_fma_f64 v[142:143], v[154:155], s[4:5], -v[132:133]
	v_add_f64 v[38:39], v[50:51], v[138:139]
	v_add_f64 v[138:139], v[138:139], -v[50:51]
	v_add_f64 v[50:51], v[28:29], -v[16:17]
	v_fma_f64 v[4:5], v[13:14], s[2:3], v[4:5]
	v_fma_f64 v[13:14], v[13:14], s[2:3], v[20:21]
	v_add_f64 v[20:21], v[124:125], v[128:129]
	v_fma_f64 v[164:165], v[146:147], s[4:5], v[32:33]
	v_add_f64 v[32:33], v[62:63], v[54:55]
	v_add_f64 v[132:133], v[0:1], v[142:143]
	v_add_f64 v[142:143], v[0:1], -v[142:143]
	v_add_f64 v[0:1], v[64:65], v[2:3]
	v_add_f64 v[2:3], v[60:61], v[52:53]
	v_add_f64 v[144:145], v[56:57], -v[64:65]
	s_waitcnt vmcnt(5)
	v_add_f64 v[158:159], v[120:121], v[128:129]
	v_fma_f64 v[6:7], v[160:161], s[14:15], v[6:7]
	v_add_f64 v[20:21], v[52:53], v[20:21]
	v_add_f64 v[160:161], v[128:129], -v[52:53]
	v_add_f64 v[166:167], v[120:121], -v[60:61]
	v_fma_f64 v[32:33], v[32:33], -0.5, v[126:127]
	v_add_f64 v[168:169], v[128:129], -v[120:121]
	v_add_f64 v[170:171], v[122:123], v[130:131]
	v_fma_f64 v[2:3], v[2:3], -0.5, v[124:125]
	v_add_f64 v[162:163], v[130:131], -v[122:123]
	v_add_f64 v[50:51], v[50:51], v[144:145]
	v_add_f64 v[144:145], v[54:55], -v[62:63]
	v_fma_f64 v[124:125], v[158:159], -0.5, v[124:125]
	v_add_f64 v[172:173], v[60:61], v[20:21]
	v_add_f64 v[160:161], v[166:167], v[160:161]
	v_fma_f64 v[20:21], v[168:169], s[6:7], v[32:33]
	v_add_f64 v[166:167], v[52:53], -v[60:61]
	v_fma_f64 v[170:171], v[170:171], -0.5, v[126:127]
	v_add_f64 v[52:53], v[52:53], -v[128:129]
	v_add_f64 v[128:129], v[130:131], -v[54:55]
	;; [unrolled: 1-line block ×3, first 2 shown]
	v_fma_f64 v[158:159], v[162:163], s[14:15], v[2:3]
	v_fma_f64 v[6:7], v[146:147], s[10:11], v[6:7]
	;; [unrolled: 1-line block ×4, first 2 shown]
	v_add_f64 v[60:61], v[60:61], -v[120:121]
	v_fma_f64 v[124:125], v[144:145], s[14:15], v[124:125]
	v_fma_f64 v[20:21], v[166:167], s[10:11], v[20:21]
	;; [unrolled: 1-line block ×4, first 2 shown]
	v_add_f64 v[186:187], v[54:55], -v[130:131]
	v_add_f64 v[188:189], v[62:63], -v[122:123]
	v_fma_f64 v[170:171], v[166:167], s[6:7], v[170:171]
	v_add_f64 v[128:129], v[182:183], v[128:129]
	v_fma_f64 v[146:147], v[162:163], s[4:5], v[146:147]
	v_add_f64 v[52:53], v[60:61], v[52:53]
	v_fma_f64 v[2:3], v[144:145], s[10:11], v[2:3]
	v_fma_f64 v[158:159], v[144:145], s[4:5], v[158:159]
	;; [unrolled: 1-line block ×5, first 2 shown]
	v_add_f64 v[166:167], v[188:189], v[186:187]
	v_fma_f64 v[168:169], v[168:169], s[4:5], v[170:171]
	v_fma_f64 v[60:61], v[128:129], s[2:3], v[20:21]
	;; [unrolled: 1-line block ×4, first 2 shown]
	s_waitcnt vmcnt(3)
	v_add_f64 v[146:147], v[116:117], v[96:97]
	v_fma_f64 v[188:189], v[160:161], s[2:3], v[158:159]
	v_fma_f64 v[6:7], v[50:51], s[2:3], v[6:7]
	;; [unrolled: 1-line block ×4, first 2 shown]
	v_mul_f64 v[2:3], v[60:61], s[4:5]
	v_fma_f64 v[168:169], v[50:51], s[2:3], v[164:165]
	v_add_f64 v[50:51], v[120:121], v[172:173]
	v_add_f64 v[120:121], v[108:109], v[84:85]
	v_fma_f64 v[182:183], v[166:167], s[2:3], v[162:163]
	v_mul_f64 v[144:145], v[20:21], s[16:17]
	v_fma_f64 v[166:167], v[146:147], -0.5, v[108:109]
	s_waitcnt vmcnt(1)
	v_add_f64 v[170:171], v[86:87], -v[106:107]
	v_add_f64 v[190:191], v[84:85], v[104:105]
	v_fma_f64 v[2:3], v[188:189], s[16:17], v[2:3]
	v_add_f64 v[200:201], v[92:93], v[88:89]
	v_add_f64 v[120:121], v[120:121], v[96:97]
	v_add_f64 v[194:195], v[98:99], -v[118:119]
	v_fma_f64 v[172:173], v[128:129], s[4:5], -v[144:145]
	v_add_f64 v[144:145], v[50:51], v[0:1]
	v_fma_f64 v[192:193], v[170:171], s[14:15], v[166:167]
	v_add_f64 v[164:165], v[0:1], -v[50:51]
	v_fma_f64 v[0:1], v[170:171], s[6:7], v[166:167]
	v_fma_f64 v[50:51], v[190:191], -0.5, v[108:109]
	v_add_f64 v[146:147], v[4:5], v[2:3]
	v_add_f64 v[166:167], v[4:5], -v[2:3]
	v_add_f64 v[2:3], v[116:117], v[120:121]
	v_fma_f64 v[120:121], v[200:201], -0.5, v[100:101]
	s_waitcnt vmcnt(0)
	v_add_f64 v[190:191], v[114:115], -v[82:83]
	v_add_f64 v[196:197], v[84:85], -v[96:97]
	;; [unrolled: 1-line block ×3, first 2 shown]
	v_fma_f64 v[4:5], v[194:195], s[4:5], v[192:193]
	v_fma_f64 v[0:1], v[194:195], s[10:11], v[0:1]
	;; [unrolled: 1-line block ×3, first 2 shown]
	v_add_f64 v[200:201], v[80:81], v[112:113]
	v_fma_f64 v[50:51], v[194:195], s[14:15], v[50:51]
	v_add_f64 v[194:195], v[112:113], v[100:101]
	v_fma_f64 v[207:208], v[190:191], s[14:15], v[120:121]
	v_add_f64 v[209:210], v[94:95], -v[90:91]
	v_add_f64 v[108:109], v[198:199], v[196:197]
	v_add_f64 v[196:197], v[96:97], -v[84:85]
	v_add_f64 v[198:199], v[116:117], -v[104:105]
	;; [unrolled: 1-line block ×4, first 2 shown]
	v_fma_f64 v[215:216], v[170:171], s[4:5], v[192:193]
	v_fma_f64 v[100:101], v[200:201], -0.5, v[100:101]
	v_fma_f64 v[50:51], v[170:171], s[10:11], v[50:51]
	v_add_f64 v[170:171], v[92:93], v[194:195]
	v_add_f64 v[194:195], v[94:95], v[90:91]
	v_fma_f64 v[192:193], v[209:210], s[4:5], v[207:208]
	v_add_f64 v[207:208], v[82:83], v[114:115]
	v_add_f64 v[217:218], v[198:199], v[196:197]
	;; [unrolled: 1-line block ×3, first 2 shown]
	v_fma_f64 v[120:121], v[190:191], s[6:7], v[120:121]
	v_fma_f64 v[196:197], v[209:210], s[6:7], v[100:101]
	v_add_f64 v[200:201], v[92:93], -v[112:113]
	v_add_f64 v[211:212], v[88:89], -v[80:81]
	v_fma_f64 v[100:101], v[209:210], s[14:15], v[100:101]
	v_fma_f64 v[194:195], v[194:195], -0.5, v[102:103]
	v_add_f64 v[112:113], v[112:113], -v[80:81]
	v_add_f64 v[213:214], v[114:115], -v[94:95]
	v_add_f64 v[219:220], v[82:83], -v[90:91]
	v_add_f64 v[92:93], v[92:93], -v[88:89]
	v_fma_f64 v[207:208], v[207:208], -0.5, v[102:103]
	v_fma_f64 v[209:210], v[209:210], s[10:11], v[120:121]
	v_fma_f64 v[120:121], v[190:191], s[4:5], v[196:197]
	v_add_f64 v[211:212], v[211:212], v[200:201]
	v_fma_f64 v[100:101], v[190:191], s[10:11], v[100:101]
	v_fma_f64 v[190:191], v[112:113], s[6:7], v[194:195]
	v_add_f64 v[213:214], v[219:220], v[213:214]
	v_add_f64 v[200:201], v[94:95], -v[114:115]
	v_add_f64 v[219:220], v[90:91], -v[82:83]
	v_fma_f64 v[196:197], v[92:93], s[14:15], v[207:208]
	v_fma_f64 v[207:208], v[92:93], s[6:7], v[207:208]
	v_fma_f64 v[194:195], v[112:113], s[14:15], v[194:195]
	v_fma_f64 v[221:222], v[108:109], s[2:3], v[4:5]
	v_add_f64 v[4:5], v[88:89], v[170:171]
	v_fma_f64 v[88:89], v[92:93], s[10:11], v[190:191]
	v_fma_f64 v[32:33], v[52:53], s[2:3], v[124:125]
	v_add_f64 v[219:220], v[219:220], v[200:201]
	v_fma_f64 v[200:201], v[198:199], s[2:3], v[192:193]
	v_fma_f64 v[223:224], v[112:113], s[10:11], v[196:197]
	;; [unrolled: 1-line block ×8, first 2 shown]
	v_mul_f64 v[88:89], v[200:201], s[16:17]
	v_mul_f64 v[52:53], v[186:187], s[2:3]
	;; [unrolled: 1-line block ×3, first 2 shown]
	v_fma_f64 v[192:193], v[219:220], s[2:3], v[223:224]
	v_fma_f64 v[198:199], v[219:220], s[2:3], v[112:113]
	v_mul_f64 v[100:101], v[196:197], s[2:3]
	v_mul_f64 v[112:113], v[120:121], s[2:3]
	v_fma_f64 v[194:195], v[213:214], s[2:3], v[170:171]
	v_mul_f64 v[170:171], v[92:93], s[16:17]
	v_add_f64 v[2:3], v[104:105], v[2:3]
	v_fma_f64 v[211:212], v[217:218], s[2:3], v[50:51]
	v_add_f64 v[50:51], v[80:81], v[4:5]
	v_fma_f64 v[80:81], v[190:191], s[4:5], v[88:89]
	v_fma_f64 v[52:53], v[182:183], s[14:15], v[52:53]
	v_fma_f64 v[124:125], v[184:185], s[14:15], -v[124:125]
	v_fma_f64 v[108:109], v[108:109], s[2:3], v[0:1]
	v_fma_f64 v[0:1], v[217:218], s[2:3], v[215:216]
	;; [unrolled: 1-line block ×3, first 2 shown]
	v_fma_f64 v[100:101], v[198:199], s[14:15], -v[112:113]
	v_fma_f64 v[112:113], v[194:195], s[4:5], -v[170:171]
	v_add_f64 v[207:208], v[2:3], v[50:51]
	v_add_f64 v[209:210], v[221:222], v[80:81]
	v_add_f64 v[158:159], v[168:169], v[52:53]
	v_add_f64 v[160:161], v[6:7], v[124:125]
	v_add_f64 v[162:163], v[13:14], v[172:173]
	v_add_f64 v[214:215], v[0:1], v[88:89]
	v_add_f64 v[216:217], v[211:212], v[100:101]
	v_add_f64 v[170:171], v[6:7], -v[124:125]
	v_add_f64 v[4:5], v[108:109], v[112:113]
	v_add_f64 v[6:7], v[2:3], -v[50:51]
	v_add_f64 v[168:169], v[168:169], -v[52:53]
	;; [unrolled: 1-line block ×7, first 2 shown]
	v_lshlrev_b32_e32 v211, 3, v8
	v_add_u32_e32 v88, 0, v211
	v_mul_i32_i24_e32 v8, 10, v204
	v_mul_u32_u24_e32 v13, 10, v203
	v_lshl_add_u32 v81, v8, 3, v88
	v_mul_i32_i24_e32 v8, 10, v205
	v_lshl_add_u32 v80, v13, 3, v88
	v_lshl_add_u32 v213, v8, 3, v88
	v_lshlrev_b32_e32 v8, 3, v203
	ds_write_b128 v80, v[9:12]
	ds_write_b128 v80, v[38:41] offset:16
	ds_write_b128 v80, v[132:135] offset:32
	ds_write_b128 v80, v[136:139] offset:48
	ds_write_b128 v80, v[140:143] offset:64
	ds_write_b128 v81, v[144:147]
	ds_write_b128 v81, v[158:161] offset:16
	ds_write_b128 v81, v[162:165] offset:32
	ds_write_b128 v81, v[166:169] offset:48
	ds_write_b128 v81, v[170:173] offset:64
	;; [unrolled: 5-line block ×3, first 2 shown]
	v_add_u32_e32 v207, v88, v8
	v_add3_u32 v208, 0, v8, v211
	s_waitcnt lgkmcnt(0)
	; wave barrier
	s_waitcnt lgkmcnt(0)
	ds_read_b64 v[108:109], v207
	ds_read2_b64 v[170:173], v208 offset0:60 offset1:76
	ds_read2_b64 v[140:143], v208 offset0:92 offset1:120
	;; [unrolled: 1-line block ×4, first 2 shown]
	v_add_u32_e32 v214, 0x800, v208
	v_lshl_add_u32 v210, v205, 3, v88
	ds_read2_b64 v[162:165], v214 offset0:44 offset1:60
	ds_read2_b64 v[132:135], v214 offset0:76 offset1:104
	;; [unrolled: 1-line block ×3, first 2 shown]
	v_lshl_add_u32 v209, v204, 3, v88
	ds_read2_b64 v[144:147], v208 offset0:136 offset1:152
	ds_read2_b64 v[12:15], v214 offset1:16
	ds_read2_b64 v[136:139], v214 offset0:120 offset1:136
	ds_read_b64 v[88:89], v210
	ds_read_b64 v[100:101], v209
	ds_read_b64 v[124:125], v208 offset:3616
	v_cmp_gt_u32_e64 s[0:1], 12, v203
	v_lshlrev_b32_e32 v212, 3, v206
                                        ; implicit-def: $vgpr40_vgpr41
                                        ; implicit-def: $vgpr112_vgpr113
	s_and_saveexec_b64 s[18:19], s[0:1]
	s_cbranch_execz .LBB0_15
; %bb.14:
	v_add3_u32 v4, 0, v212, v211
	ds_read2_b64 v[215:218], v208 offset0:108 offset1:168
	v_add_u32_e32 v0, 0x400, v208
	ds_read2_b64 v[0:3], v0 offset0:100 offset1:160
	ds_read2_b64 v[38:41], v214 offset0:92 offset1:152
	ds_read_b64 v[4:5], v4
	ds_read_b64 v[112:113], v208 offset:3744
	s_waitcnt lgkmcnt(3)
	v_mov_b32_e32 v53, v1
	v_mov_b32_e32 v52, v0
	;; [unrolled: 1-line block ×5, first 2 shown]
	s_waitcnt lgkmcnt(2)
	v_mov_b32_e32 v2, v38
	v_mov_b32_e32 v50, v217
	;; [unrolled: 1-line block ×5, first 2 shown]
.LBB0_15:
	s_or_b64 exec, exec, s[18:19]
	v_add_f64 v[38:39], v[70:71], v[26:27]
	v_add_f64 v[215:216], v[46:47], v[78:79]
	v_add_f64 v[217:218], v[78:79], v[74:75]
	v_add_f64 v[44:45], v[76:77], -v[44:45]
	v_add_f64 v[24:25], v[68:69], -v[24:25]
	;; [unrolled: 1-line block ×4, first 2 shown]
	v_add_f64 v[148:149], v[148:149], v[152:153]
	v_fma_f64 v[38:39], v[38:39], -0.5, v[74:75]
	v_fma_f64 v[74:75], v[215:216], -0.5, v[74:75]
	v_add_f64 v[70:71], v[70:71], v[217:218]
	v_add_f64 v[76:77], v[46:47], -v[26:27]
	v_add_f64 v[152:153], v[26:27], -v[46:47]
	v_mul_f64 v[178:179], v[178:179], s[6:7]
	v_mul_f64 v[180:181], v[180:181], s[10:11]
	v_add_f64 v[148:149], v[148:149], v[156:157]
	v_fma_f64 v[215:216], v[44:45], s[6:7], v[38:39]
	v_fma_f64 v[38:39], v[44:45], s[14:15], v[38:39]
	v_fma_f64 v[217:218], v[24:25], s[14:15], v[74:75]
	v_fma_f64 v[74:75], v[24:25], s[6:7], v[74:75]
	v_add_f64 v[26:27], v[26:27], v[70:71]
	v_add_f64 v[68:69], v[76:77], v[68:69]
	;; [unrolled: 1-line block ×4, first 2 shown]
	v_fma_f64 v[70:71], v[24:25], s[10:11], v[215:216]
	v_fma_f64 v[24:25], v[24:25], s[4:5], v[38:39]
	;; [unrolled: 1-line block ×4, first 2 shown]
	v_mul_f64 v[74:75], v[176:177], s[2:3]
	v_mul_f64 v[78:79], v[154:155], s[16:17]
	v_add_f64 v[46:47], v[46:47], v[26:27]
	v_fma_f64 v[72:73], v[72:73], s[2:3], v[178:179]
	v_fma_f64 v[70:71], v[68:69], s[2:3], v[70:71]
	;; [unrolled: 1-line block ×4, first 2 shown]
	v_add_f64 v[68:69], v[34:35], v[42:43]
	v_fma_f64 v[74:75], v[48:49], s[6:7], -v[74:75]
	v_add_f64 v[48:49], v[30:31], v[58:59]
	v_fma_f64 v[76:77], v[76:77], s[2:3], v[44:45]
	v_add_f64 v[152:153], v[18:19], v[66:67]
	v_add_f64 v[154:155], v[18:19], v[22:23]
	v_add_f64 v[16:17], v[16:17], -v[64:65]
	v_fma_f64 v[150:151], v[150:151], s[16:17], v[180:181]
	v_fma_f64 v[78:79], v[36:37], s[10:11], -v[78:79]
	v_add_f64 v[24:25], v[68:69], v[46:47]
	v_fma_f64 v[156:157], v[48:49], -0.5, v[22:23]
	v_add_f64 v[34:35], v[38:39], v[72:73]
	v_add_f64 v[36:37], v[76:77], v[74:75]
	v_add_f64 v[44:45], v[46:47], -v[68:69]
	v_add_f64 v[48:49], v[38:39], -v[72:73]
	;; [unrolled: 1-line block ×4, first 2 shown]
	v_fma_f64 v[22:23], v[152:153], -0.5, v[22:23]
	v_add_f64 v[38:39], v[30:31], v[154:155]
	v_fma_f64 v[56:57], v[16:17], s[6:7], v[156:157]
	v_add_f64 v[64:65], v[18:19], -v[30:31]
	v_add_f64 v[72:73], v[126:127], v[130:131]
	v_add_f64 v[74:75], v[66:67], -v[58:59]
	v_fma_f64 v[76:77], v[16:17], s[14:15], v[156:157]
	v_add_f64 v[26:27], v[70:71], v[150:151]
	v_add_f64 v[42:43], v[148:149], v[78:79]
	v_add_f64 v[46:47], v[70:71], -v[150:151]
	v_add_f64 v[70:71], v[148:149], -v[78:79]
	v_fma_f64 v[78:79], v[28:29], s[14:15], v[22:23]
	v_add_f64 v[18:19], v[30:31], -v[18:19]
	v_add_f64 v[30:31], v[58:59], -v[66:67]
	v_add_f64 v[38:39], v[58:59], v[38:39]
	v_fma_f64 v[22:23], v[28:29], s[6:7], v[22:23]
	v_add_f64 v[54:55], v[54:55], v[72:73]
	v_fma_f64 v[56:57], v[28:29], s[10:11], v[56:57]
	v_add_f64 v[58:59], v[64:65], v[74:75]
	v_fma_f64 v[28:29], v[28:29], s[4:5], v[76:77]
	v_fma_f64 v[64:65], v[16:17], s[10:11], v[78:79]
	v_add_f64 v[18:19], v[18:19], v[30:31]
	v_add_f64 v[38:39], v[66:67], v[38:39]
	v_fma_f64 v[16:17], v[16:17], s[4:5], v[22:23]
	v_add_f64 v[22:23], v[62:63], v[54:55]
	v_add_f64 v[76:77], v[84:85], -v[104:105]
	v_fma_f64 v[66:67], v[58:59], s[2:3], v[56:57]
	v_fma_f64 v[58:59], v[58:59], s[2:3], v[28:29]
	v_add_f64 v[28:29], v[118:119], v[98:99]
	v_fma_f64 v[74:75], v[18:19], s[2:3], v[64:65]
	v_add_f64 v[64:65], v[110:111], v[86:87]
	;; [unrolled: 2-line block ×3, first 2 shown]
	v_add_f64 v[78:79], v[86:87], v[106:107]
	v_mul_f64 v[30:31], v[188:189], s[10:11]
	v_add_f64 v[96:97], v[96:97], -v[116:117]
	v_fma_f64 v[72:73], v[28:29], -0.5, v[110:111]
	v_add_f64 v[116:117], v[86:87], -v[98:99]
	v_add_f64 v[84:85], v[64:65], v[98:99]
	v_add_f64 v[122:123], v[106:107], -v[118:119]
	v_add_f64 v[28:29], v[18:19], v[38:39]
	v_fma_f64 v[78:79], v[78:79], -0.5, v[110:111]
	v_add_f64 v[64:65], v[38:39], -v[18:19]
	v_add_f64 v[38:39], v[114:115], v[102:103]
	v_fma_f64 v[104:105], v[76:77], s[6:7], v[72:73]
	v_fma_f64 v[22:23], v[60:61], s[16:17], v[30:31]
	v_add_f64 v[18:19], v[118:119], v[84:85]
	v_add_f64 v[102:103], v[122:123], v[116:117]
	v_add_f64 v[86:87], v[98:99], -v[86:87]
	v_fma_f64 v[110:111], v[96:97], s[14:15], v[78:79]
	v_add_f64 v[98:99], v[118:119], -v[106:107]
	v_fma_f64 v[78:79], v[96:97], s[6:7], v[78:79]
	v_fma_f64 v[84:85], v[96:97], s[10:11], v[104:105]
	;; [unrolled: 1-line block ×3, first 2 shown]
	v_add_f64 v[38:39], v[94:95], v[38:39]
	v_mul_f64 v[54:55], v[186:187], s[6:7]
	v_mul_f64 v[56:57], v[184:185], s[2:3]
	;; [unrolled: 1-line block ×3, first 2 shown]
	v_add_f64 v[30:31], v[66:67], v[22:23]
	v_add_f64 v[72:73], v[66:67], -v[22:23]
	v_fma_f64 v[22:23], v[102:103], s[2:3], v[84:85]
	v_fma_f64 v[66:67], v[96:97], s[4:5], v[104:105]
	;; [unrolled: 1-line block ×3, first 2 shown]
	v_add_f64 v[86:87], v[98:99], v[86:87]
	v_fma_f64 v[76:77], v[76:77], s[4:5], v[78:79]
	v_add_f64 v[38:39], v[90:91], v[38:39]
	v_mul_f64 v[78:79], v[200:201], s[10:11]
	v_mul_f64 v[90:91], v[196:197], s[6:7]
	;; [unrolled: 1-line block ×4, first 2 shown]
	v_fma_f64 v[60:61], v[182:183], s[2:3], v[54:55]
	v_fma_f64 v[32:33], v[32:33], s[6:7], -v[56:57]
	v_fma_f64 v[20:21], v[20:21], s[10:11], -v[62:63]
	v_add_f64 v[18:19], v[106:107], v[18:19]
	v_fma_f64 v[66:67], v[102:103], s[2:3], v[66:67]
	v_fma_f64 v[98:99], v[86:87], s[2:3], v[84:85]
	;; [unrolled: 1-line block ×3, first 2 shown]
	v_add_f64 v[38:39], v[82:83], v[38:39]
	v_fma_f64 v[102:103], v[190:191], s[16:17], v[78:79]
	v_fma_f64 v[104:105], v[192:193], s[2:3], v[90:91]
	v_fma_f64 v[94:95], v[120:121], s[6:7], -v[94:95]
	v_fma_f64 v[96:97], v[92:93], s[10:11], -v[96:97]
	v_add_f64 v[54:55], v[74:75], v[60:61]
	v_add_f64 v[56:57], v[16:17], v[32:33]
	;; [unrolled: 1-line block ×3, first 2 shown]
	v_add_f64 v[74:75], v[74:75], -v[60:61]
	v_add_f64 v[76:77], v[16:17], -v[32:33]
	;; [unrolled: 1-line block ×3, first 2 shown]
	v_add_f64 v[82:83], v[18:19], v[38:39]
	v_add_f64 v[84:85], v[22:23], v[102:103]
	;; [unrolled: 1-line block ×5, first 2 shown]
	v_add_f64 v[18:19], v[18:19], -v[38:39]
	v_add_f64 v[58:59], v[22:23], -v[102:103]
	;; [unrolled: 1-line block ×5, first 2 shown]
	s_waitcnt lgkmcnt(0)
	; wave barrier
	s_waitcnt lgkmcnt(0)
	ds_write_b128 v80, v[24:27]
	ds_write_b128 v80, v[34:37] offset:16
	ds_write_b128 v80, v[42:45] offset:32
	ds_write_b128 v80, v[46:49] offset:48
	ds_write_b128 v80, v[68:71] offset:64
	ds_write_b128 v81, v[28:31]
	ds_write_b128 v81, v[54:57] offset:16
	ds_write_b128 v81, v[62:65] offset:32
	ds_write_b128 v81, v[72:75] offset:48
	ds_write_b128 v81, v[76:79] offset:64
	;; [unrolled: 5-line block ×3, first 2 shown]
	s_waitcnt lgkmcnt(0)
	; wave barrier
	s_waitcnt lgkmcnt(0)
	ds_read_b64 v[86:87], v207
	ds_read2_b64 v[82:85], v208 offset0:60 offset1:76
	ds_read2_b64 v[66:69], v208 offset0:92 offset1:120
	;; [unrolled: 1-line block ×8, first 2 shown]
	ds_read2_b64 v[28:31], v214 offset1:16
	ds_read2_b64 v[62:65], v214 offset0:120 offset1:136
	ds_read_b64 v[90:91], v210
	ds_read_b64 v[92:93], v209
	ds_read_b64 v[176:177], v208 offset:3616
                                        ; implicit-def: $vgpr56_vgpr57
                                        ; implicit-def: $vgpr94_vgpr95
	s_and_saveexec_b64 s[2:3], s[0:1]
	s_cbranch_execz .LBB0_17
; %bb.16:
	v_add_u32_e32 v17, 0x400, v208
	ds_read2_b64 v[20:23], v17 offset0:100 offset1:160
	ds_read2_b64 v[32:35], v208 offset0:108 offset1:168
	v_add3_u32 v16, 0, v212, v211
	v_add_u32_e32 v17, 0x800, v208
	ds_read2_b64 v[54:57], v17 offset0:92 offset1:152
	ds_read_b64 v[16:17], v16
	ds_read_b64 v[94:95], v208 offset:3744
	s_waitcnt lgkmcnt(4)
	v_mov_b32_e32 v61, v21
	v_mov_b32_e32 v60, v20
	;; [unrolled: 1-line block ×3, first 2 shown]
	s_waitcnt lgkmcnt(3)
	v_mov_b32_e32 v18, v32
	v_mov_b32_e32 v21, v23
	s_waitcnt lgkmcnt(2)
	v_mov_b32_e32 v22, v54
	v_mov_b32_e32 v59, v35
	;; [unrolled: 1-line block ×5, first 2 shown]
.LBB0_17:
	s_or_b64 exec, exec, s[2:3]
	v_add_u32_e32 v32, -10, v203
	v_cmp_gt_u32_e64 s[2:3], 10, v203
	v_cndmask_b32_e64 v178, v32, v203, s[2:3]
	v_mul_i32_i24_e32 v32, 7, v178
	v_mov_b32_e32 v33, 0
	v_lshlrev_b64 v[32:33], 4, v[32:33]
	s_mov_b32 s5, 0xbfe6a09e
	v_add_co_u32_e64 v96, s[2:3], s8, v32
	v_mov_b32_e32 v32, s9
	v_addc_co_u32_e64 v97, s[2:3], v32, v33, s[2:3]
	global_load_dwordx4 v[32:35], v[96:97], off offset:48
	global_load_dwordx4 v[36:39], v[96:97], off offset:32
	;; [unrolled: 1-line block ×3, first 2 shown]
	global_load_dwordx4 v[114:117], v[96:97], off
	s_movk_i32 s2, 0xcd
	s_waitcnt vmcnt(0) lgkmcnt(12)
	v_mul_f64 v[54:55], v[82:83], v[116:117]
	v_fma_f64 v[98:99], v[170:171], v[114:115], -v[54:55]
	v_mul_f64 v[54:55], v[170:171], v[116:117]
	v_fma_f64 v[102:103], v[82:83], v[114:115], v[54:55]
	s_waitcnt lgkmcnt(11)
	v_mul_f64 v[54:55], v[68:69], v[106:107]
	v_fma_f64 v[114:115], v[142:143], v[104:105], -v[54:55]
	v_mul_f64 v[54:55], v[142:143], v[106:107]
	v_fma_f64 v[54:55], v[68:69], v[104:105], v[54:55]
	s_waitcnt lgkmcnt(10)
	v_mul_f64 v[68:69], v[78:79], v[38:39]
	v_mul_f64 v[38:39], v[166:167], v[38:39]
	v_fma_f64 v[82:83], v[166:167], v[36:37], -v[68:69]
	v_fma_f64 v[78:79], v[78:79], v[36:37], v[38:39]
	s_waitcnt lgkmcnt(9)
	v_mul_f64 v[36:37], v[26:27], v[34:35]
	v_fma_f64 v[122:123], v[10:11], v[32:33], -v[36:37]
	global_load_dwordx4 v[36:39], v[96:97], off offset:96
	global_load_dwordx4 v[104:107], v[96:97], off offset:80
	;; [unrolled: 1-line block ×3, first 2 shown]
	s_waitcnt vmcnt(0) lgkmcnt(8)
	v_mul_f64 v[68:69], v[74:75], v[120:121]
	v_fma_f64 v[116:117], v[162:163], v[118:119], -v[68:69]
	v_mul_f64 v[68:69], v[162:163], v[120:121]
	v_fma_f64 v[118:119], v[74:75], v[118:119], v[68:69]
	s_waitcnt lgkmcnt(7)
	v_mul_f64 v[68:69], v[48:49], v[106:107]
	v_fma_f64 v[126:127], v[134:135], v[104:105], -v[68:69]
	v_mul_f64 v[68:69], v[134:135], v[106:107]
	v_fma_f64 v[128:129], v[48:49], v[104:105], v[68:69]
	s_waitcnt lgkmcnt(6)
	v_mul_f64 v[48:49], v[42:43], v[38:39]
	v_mul_f64 v[38:39], v[158:159], v[38:39]
	v_fma_f64 v[106:107], v[158:159], v[36:37], -v[48:49]
	v_fma_f64 v[110:111], v[42:43], v[36:37], v[38:39]
	v_mul_lo_u16_sdwa v36, v204, s2 dst_sel:DWORD dst_unused:UNUSED_PAD src0_sel:BYTE_0 src1_sel:DWORD
	v_lshrrev_b16_e32 v166, 11, v36
	v_mul_lo_u16_e32 v36, 10, v166
	v_sub_u16_e32 v167, v204, v36
	v_mul_lo_u16_e32 v36, 7, v167
	v_mov_b32_e32 v37, 4
	v_lshlrev_b32_sdwa v48, v37, v36 dst_sel:DWORD dst_unused:UNUSED_PAD src0_sel:DWORD src1_sel:BYTE_0
	global_load_dwordx4 v[36:39], v48, s[8:9] offset:48
	global_load_dwordx4 v[148:151], v48, s[8:9] offset:32
	;; [unrolled: 1-line block ×3, first 2 shown]
	global_load_dwordx4 v[156:159], v48, s[8:9]
	s_waitcnt vmcnt(0)
	v_mul_f64 v[42:43], v[84:85], v[158:159]
	v_fma_f64 v[96:97], v[172:173], v[156:157], -v[42:43]
	v_mul_f64 v[42:43], v[172:173], v[158:159]
	v_mov_b32_e32 v172, 7
	v_fma_f64 v[84:85], v[84:85], v[156:157], v[42:43]
	s_waitcnt lgkmcnt(5)
	v_mul_f64 v[42:43], v[70:71], v[154:155]
	v_fma_f64 v[104:105], v[144:145], v[152:153], -v[42:43]
	v_mul_f64 v[42:43], v[144:145], v[154:155]
	v_fma_f64 v[68:69], v[70:71], v[152:153], v[42:43]
	v_mul_f64 v[42:43], v[80:81], v[150:151]
	v_fma_f64 v[70:71], v[168:169], v[148:149], -v[42:43]
	v_mul_f64 v[42:43], v[168:169], v[150:151]
	global_load_dwordx4 v[168:171], v48, s[8:9] offset:96
	global_load_dwordx4 v[142:145], v48, s[8:9] offset:80
	;; [unrolled: 1-line block ×3, first 2 shown]
	v_fma_f64 v[74:75], v[80:81], v[148:149], v[42:43]
	s_waitcnt lgkmcnt(4)
	v_mul_f64 v[42:43], v[28:29], v[38:39]
	v_fma_f64 v[80:81], v[12:13], v[36:37], -v[42:43]
	s_waitcnt vmcnt(0)
	v_mul_f64 v[42:43], v[76:77], v[154:155]
	v_fma_f64 v[150:151], v[164:165], v[152:153], -v[42:43]
	v_mul_f64 v[42:43], v[164:165], v[154:155]
	v_fma_f64 v[152:153], v[76:77], v[152:153], v[42:43]
	s_waitcnt lgkmcnt(3)
	v_mul_f64 v[42:43], v[62:63], v[144:145]
	v_fma_f64 v[154:155], v[136:137], v[142:143], -v[42:43]
	v_mul_f64 v[42:43], v[136:137], v[144:145]
	v_fma_f64 v[156:157], v[62:63], v[142:143], v[42:43]
	v_mul_f64 v[42:43], v[44:45], v[170:171]
	v_fma_f64 v[144:145], v[160:161], v[168:169], -v[42:43]
	v_mul_f64 v[42:43], v[160:161], v[170:171]
	v_add_f64 v[144:145], v[70:71], -v[144:145]
	v_fma_f64 v[148:149], v[44:45], v[168:169], v[42:43]
	v_mul_lo_u16_sdwa v42, v205, s2 dst_sel:DWORD dst_unused:UNUSED_PAD src0_sel:BYTE_0 src1_sel:DWORD
	v_lshrrev_b16_e32 v168, 11, v42
	v_mul_lo_u16_e32 v42, 10, v168
	v_sub_u16_e32 v169, v205, v42
	v_mul_u32_u24_sdwa v42, v169, v172 dst_sel:DWORD dst_unused:UNUSED_PAD src0_sel:BYTE_0 src1_sel:DWORD
	v_lshlrev_b32_e32 v142, 4, v42
	global_load_dwordx4 v[42:45], v142, s[8:9] offset:48
	global_load_dwordx4 v[134:137], v142, s[8:9] offset:32
	;; [unrolled: 1-line block ×3, first 2 shown]
	global_load_dwordx4 v[162:165], v142, s[8:9]
	v_add_f64 v[148:149], v[74:75], -v[148:149]
	v_fma_f64 v[70:71], v[70:71], 2.0, -v[144:145]
	v_fma_f64 v[74:75], v[74:75], 2.0, -v[148:149]
	s_waitcnt vmcnt(0)
	v_mul_f64 v[48:49], v[66:67], v[164:165]
	v_fma_f64 v[76:77], v[140:141], v[162:163], -v[48:49]
	v_mul_f64 v[48:49], v[140:141], v[164:165]
	v_fma_f64 v[120:121], v[66:67], v[162:163], v[48:49]
	v_mul_f64 v[48:49], v[72:73], v[160:161]
	v_fma_f64 v[130:131], v[146:147], v[158:159], -v[48:49]
	v_mul_f64 v[48:49], v[146:147], v[160:161]
	v_fma_f64 v[62:63], v[72:73], v[158:159], v[48:49]
	global_load_dwordx4 v[158:161], v142, s[8:9] offset:96
	global_load_dwordx4 v[162:165], v142, s[8:9] offset:80
	s_nop 0
	global_load_dwordx4 v[140:143], v142, s[8:9] offset:64
	v_mul_f64 v[48:49], v[24:25], v[136:137]
	v_fma_f64 v[66:67], v[8:9], v[134:135], -v[48:49]
	v_mul_f64 v[8:9], v[8:9], v[136:137]
	v_fma_f64 v[8:9], v[24:25], v[134:135], v[8:9]
	v_mul_f64 v[24:25], v[30:31], v[44:45]
	v_fma_f64 v[134:135], v[14:15], v[42:43], -v[24:25]
	s_waitcnt vmcnt(0)
	v_mul_f64 v[24:25], v[46:47], v[142:143]
	v_fma_f64 v[136:137], v[132:133], v[140:141], -v[24:25]
	v_mul_f64 v[24:25], v[132:133], v[142:143]
	v_add_f64 v[136:137], v[76:77], -v[136:137]
	v_fma_f64 v[140:141], v[46:47], v[140:141], v[24:25]
	v_mul_f64 v[24:25], v[64:65], v[164:165]
	v_fma_f64 v[142:143], v[138:139], v[162:163], -v[24:25]
	v_mul_f64 v[24:25], v[138:139], v[164:165]
	v_fma_f64 v[138:139], v[64:65], v[162:163], v[24:25]
	s_waitcnt lgkmcnt(0)
	v_mul_f64 v[24:25], v[176:177], v[160:161]
	v_fma_f64 v[132:133], v[124:125], v[158:159], -v[24:25]
	v_mul_f64 v[24:25], v[124:125], v[160:161]
	v_fma_f64 v[124:125], v[176:177], v[158:159], v[24:25]
	v_mul_lo_u16_sdwa v24, v206, s2 dst_sel:DWORD dst_unused:UNUSED_PAD src0_sel:BYTE_0 src1_sel:DWORD
	v_lshrrev_b16_e32 v170, 11, v24
	v_mul_lo_u16_e32 v24, 10, v170
	v_sub_u16_e32 v171, v206, v24
	v_mul_u32_u24_sdwa v24, v171, v172 dst_sel:DWORD dst_unused:UNUSED_PAD src0_sel:BYTE_0 src1_sel:DWORD
	v_lshlrev_b32_e32 v146, 4, v24
	global_load_dwordx4 v[46:49], v146, s[8:9] offset:48
	global_load_dwordx4 v[158:161], v146, s[8:9] offset:32
	;; [unrolled: 1-line block ×3, first 2 shown]
	global_load_dwordx4 v[179:182], v146, s[8:9]
	s_mov_b32 s2, 0x667f3bcd
	s_mov_b32 s3, 0x3fe6a09e
	;; [unrolled: 1-line block ×3, first 2 shown]
	v_add_f64 v[124:125], v[8:9], -v[124:125]
	s_waitcnt vmcnt(0)
	v_mul_f64 v[24:25], v[18:19], v[181:182]
	v_fma_f64 v[64:65], v[6:7], v[179:180], -v[24:25]
	v_mul_f64 v[6:7], v[6:7], v[181:182]
	v_mul_f64 v[24:25], v[60:61], v[160:161]
	v_fma_f64 v[72:73], v[18:19], v[179:180], v[6:7]
	v_mul_f64 v[6:7], v[58:59], v[164:165]
	v_mul_f64 v[18:19], v[50:51], v[164:165]
	v_fma_f64 v[24:25], v[52:53], v[158:159], -v[24:25]
	v_fma_f64 v[6:7], v[50:51], v[162:163], -v[6:7]
	v_mul_f64 v[50:51], v[52:53], v[160:161]
	v_fma_f64 v[18:19], v[58:59], v[162:163], v[18:19]
	v_fma_f64 v[50:51], v[60:61], v[158:159], v[50:51]
	global_load_dwordx4 v[58:61], v146, s[8:9] offset:96
	global_load_dwordx4 v[179:182], v146, s[8:9] offset:80
	;; [unrolled: 1-line block ×3, first 2 shown]
	s_waitcnt lgkmcnt(0)
	; wave barrier
	s_waitcnt vmcnt(0)
	v_mul_f64 v[52:53], v[22:23], v[160:161]
	v_fma_f64 v[146:147], v[2:3], v[158:159], -v[52:53]
	v_mul_f64 v[2:3], v[2:3], v[160:161]
	v_add_f64 v[52:53], v[108:109], -v[122:123]
	v_add_f64 v[122:123], v[100:101], -v[80:81]
	;; [unrolled: 1-line block ×3, first 2 shown]
	v_fma_f64 v[158:159], v[22:23], v[158:159], v[2:3]
	v_mul_f64 v[2:3], v[56:57], v[181:182]
	v_fma_f64 v[100:101], v[100:101], 2.0, -v[122:123]
	v_fma_f64 v[104:105], v[104:105], 2.0, -v[80:81]
	v_fma_f64 v[162:163], v[40:41], v[179:180], -v[2:3]
	v_mul_f64 v[2:3], v[40:41], v[181:182]
	v_add_f64 v[40:41], v[54:55], -v[128:129]
	v_add_f64 v[128:129], v[84:85], -v[152:153]
	;; [unrolled: 1-line block ×3, first 2 shown]
	v_fma_f64 v[164:165], v[56:57], v[179:180], v[2:3]
	v_mul_f64 v[2:3], v[94:95], v[60:61]
	v_fma_f64 v[56:57], v[108:109], 2.0, -v[52:53]
	v_add_f64 v[108:109], v[98:99], -v[116:117]
	v_fma_f64 v[100:101], v[100:101], 2.0, -v[104:105]
	v_add_f64 v[144:145], v[128:129], v[144:145]
	v_fma_f64 v[84:85], v[84:85], 2.0, -v[128:129]
	v_fma_f64 v[160:161], v[112:113], v[58:59], -v[2:3]
	v_mul_f64 v[2:3], v[112:113], v[60:61]
	v_add_f64 v[112:113], v[102:103], -v[118:119]
	v_fma_f64 v[98:99], v[98:99], 2.0, -v[108:109]
	v_add_f64 v[118:119], v[52:53], -v[40:41]
	v_fma_f64 v[128:129], v[128:129], 2.0, -v[144:145]
	v_add_f64 v[74:75], v[84:85], -v[74:75]
	v_fma_f64 v[94:95], v[94:95], v[58:59], v[2:3]
	v_add_f64 v[2:3], v[114:115], -v[126:127]
	v_fma_f64 v[22:23], v[102:103], 2.0, -v[112:113]
	v_add_f64 v[102:103], v[82:83], -v[106:107]
	v_add_f64 v[106:107], v[78:79], -v[110:111]
	v_fma_f64 v[110:111], v[52:53], 2.0, -v[118:119]
	v_add_f64 v[126:127], v[96:97], -v[150:151]
	v_add_f64 v[176:177], v[104:105], -v[74:75]
	;; [unrolled: 1-line block ×3, first 2 shown]
	v_fma_f64 v[58:59], v[114:115], 2.0, -v[2:3]
	v_fma_f64 v[60:61], v[82:83], 2.0, -v[102:103]
	;; [unrolled: 1-line block ×3, first 2 shown]
	v_add_f64 v[116:117], v[112:113], v[102:103]
	v_fma_f64 v[96:97], v[96:97], 2.0, -v[126:127]
	v_add_f64 v[148:149], v[126:127], -v[148:149]
	v_fma_f64 v[50:51], v[50:51], 2.0, -v[94:95]
	v_add_f64 v[82:83], v[56:57], -v[58:59]
	;; [unrolled: 2-line block ×3, first 2 shown]
	v_add_f64 v[60:61], v[22:23], -v[78:79]
	v_add_f64 v[70:71], v[96:97], -v[70:71]
	v_fma_f64 v[126:127], v[126:127], 2.0, -v[148:149]
	v_mul_f64 v[104:105], v[148:149], s[2:3]
	v_fma_f64 v[56:57], v[56:57], 2.0, -v[82:83]
	v_fma_f64 v[58:59], v[98:99], 2.0, -v[52:53]
	v_add_f64 v[98:99], v[108:109], -v[106:107]
	v_fma_f64 v[96:97], v[96:97], 2.0, -v[70:71]
	v_add_f64 v[102:103], v[56:57], -v[58:59]
	v_fma_f64 v[78:79], v[108:109], 2.0, -v[98:99]
	v_fma_f64 v[108:109], v[112:113], 2.0, -v[116:117]
	v_add_f64 v[152:153], v[100:101], -v[96:97]
	v_mul_f64 v[96:97], v[126:127], s[2:3]
	v_fma_f64 v[106:107], v[56:57], 2.0, -v[102:103]
	v_mul_f64 v[56:57], v[78:79], s[2:3]
	v_fma_f64 v[78:79], v[78:79], s[4:5], v[110:111]
	v_mul_f64 v[58:59], v[108:109], s[2:3]
	v_fma_f64 v[154:155], v[100:101], 2.0, -v[152:153]
	v_mul_f64 v[100:101], v[128:129], s[2:3]
	v_fma_f64 v[108:109], v[108:109], s[4:5], v[78:79]
	v_mul_f64 v[78:79], v[98:99], s[2:3]
	v_fma_f64 v[98:99], v[98:99], s[2:3], v[118:119]
	v_fma_f64 v[112:113], v[110:111], 2.0, -v[108:109]
	v_add_f64 v[110:111], v[82:83], -v[60:61]
	v_fma_f64 v[114:115], v[82:83], 2.0, -v[110:111]
	v_mul_f64 v[82:83], v[116:117], s[2:3]
	v_fma_f64 v[116:117], v[116:117], s[4:5], v[98:99]
	v_add_f64 v[98:99], v[68:69], -v[156:157]
	v_fma_f64 v[118:119], v[118:119], 2.0, -v[116:117]
	v_add_f64 v[150:151], v[122:123], -v[98:99]
	v_fma_f64 v[122:123], v[122:123], 2.0, -v[150:151]
	v_fma_f64 v[126:127], v[126:127], s[4:5], v[122:123]
	v_fma_f64 v[156:157], v[128:129], s[4:5], v[126:127]
	;; [unrolled: 1-line block ×3, first 2 shown]
	v_add_f64 v[128:129], v[88:89], -v[134:135]
	v_fma_f64 v[172:173], v[122:123], 2.0, -v[156:157]
	v_fma_f64 v[181:182], v[144:145], s[4:5], v[126:127]
	v_fma_f64 v[134:135], v[88:89], 2.0, -v[128:129]
	v_add_f64 v[88:89], v[130:131], -v[142:143]
	v_add_f64 v[126:127], v[62:63], -v[138:139]
	;; [unrolled: 1-line block ×3, first 2 shown]
	v_fma_f64 v[140:141], v[76:77], 2.0, -v[136:137]
	v_mul_f64 v[122:123], v[144:145], s[2:3]
	v_fma_f64 v[149:150], v[150:151], 2.0, -v[181:182]
	v_fma_f64 v[130:131], v[130:131], 2.0, -v[88:89]
	;; [unrolled: 1-line block ×3, first 2 shown]
	v_add_f64 v[120:121], v[66:67], -v[132:133]
	v_fma_f64 v[132:133], v[8:9], 2.0, -v[124:125]
	v_add_f64 v[124:125], v[136:137], -v[124:125]
	v_add_f64 v[142:143], v[134:135], -v[130:131]
	v_fma_f64 v[66:67], v[66:67], 2.0, -v[120:121]
	v_add_f64 v[120:121], v[138:139], v[120:121]
	v_fma_f64 v[130:131], v[134:135], 2.0, -v[142:143]
	v_add_f64 v[134:135], v[128:129], -v[126:127]
	v_add_f64 v[8:9], v[140:141], -v[66:67]
	;; [unrolled: 1-line block ×3, first 2 shown]
	v_fma_f64 v[132:133], v[136:137], 2.0, -v[124:125]
	v_fma_f64 v[136:137], v[138:139], 2.0, -v[120:121]
	v_mul_f64 v[138:139], v[120:121], s[2:3]
	v_fma_f64 v[144:145], v[128:129], 2.0, -v[134:135]
	v_fma_f64 v[128:129], v[140:141], 2.0, -v[8:9]
	v_add_f64 v[191:192], v[142:143], -v[66:67]
	v_add_f64 v[140:141], v[64:65], -v[146:147]
	;; [unrolled: 1-line block ×3, first 2 shown]
	v_mul_f64 v[128:129], v[132:133], s[2:3]
	v_fma_f64 v[132:133], v[132:133], s[4:5], v[144:145]
	v_fma_f64 v[193:194], v[142:143], 2.0, -v[191:192]
	v_add_f64 v[142:143], v[72:73], -v[158:159]
	v_fma_f64 v[64:65], v[64:65], 2.0, -v[140:141]
	v_fma_f64 v[185:186], v[130:131], 2.0, -v[183:184]
	v_mul_f64 v[130:131], v[136:137], s[2:3]
	v_fma_f64 v[187:188], v[136:137], s[4:5], v[132:133]
	v_mul_f64 v[136:137], v[124:125], s[2:3]
	v_fma_f64 v[124:125], v[124:125], s[2:3], v[134:135]
	v_fma_f64 v[72:73], v[72:73], 2.0, -v[142:143]
	v_fma_f64 v[189:190], v[144:145], 2.0, -v[187:188]
	v_add_f64 v[144:145], v[24:25], -v[160:161]
	v_fma_f64 v[195:196], v[120:121], s[4:5], v[124:125]
	v_add_f64 v[120:121], v[6:7], -v[162:163]
	v_add_f64 v[124:125], v[18:19], -v[164:165]
	v_fma_f64 v[24:25], v[24:25], 2.0, -v[144:145]
	v_fma_f64 v[197:198], v[134:135], 2.0, -v[195:196]
	v_add_f64 v[134:135], v[72:73], -v[50:51]
	v_add_f64 v[50:51], v[142:143], v[144:145]
	v_add_f64 v[132:133], v[64:65], -v[24:25]
	v_add_f64 v[24:25], v[140:141], -v[94:95]
	v_fma_f64 v[142:143], v[142:143], 2.0, -v[50:51]
	v_mul_f64 v[146:147], v[50:51], s[2:3]
	v_fma_f64 v[94:95], v[140:141], 2.0, -v[24:25]
	v_mul_f64 v[144:145], v[142:143], s[2:3]
	v_mul_f64 v[142:143], v[24:25], s[2:3]
	v_mov_b32_e32 v24, 0x50
	v_mov_b32_e32 v25, 3
	v_mul_f64 v[140:141], v[94:95], s[2:3]
	v_cmp_lt_u32_e64 s[2:3], 9, v203
	v_cndmask_b32_e64 v24, 0, v24, s[2:3]
	v_or_b32_e32 v24, v24, v178
	v_lshlrev_b32_e32 v24, 3, v24
	v_add3_u32 v148, 0, v24, v211
	v_mul_lo_u16_e32 v24, 0x50, v166
	v_or_b32_e32 v24, v24, v167
	v_lshlrev_b32_sdwa v24, v25, v24 dst_sel:DWORD dst_unused:UNUSED_PAD src0_sel:DWORD src1_sel:BYTE_0
	ds_write2_b64 v148, v[106:107], v[112:113] offset1:10
	ds_write2_b64 v148, v[114:115], v[118:119] offset0:20 offset1:30
	ds_write2_b64 v148, v[102:103], v[108:109] offset0:40 offset1:50
	;; [unrolled: 1-line block ×3, first 2 shown]
	v_add3_u32 v102, 0, v24, v211
	v_mul_u32_u24_e32 v24, 0x50, v168
	v_or_b32_sdwa v24, v24, v169 dst_sel:DWORD dst_unused:UNUSED_PAD src0_sel:DWORD src1_sel:BYTE_0
	v_lshlrev_b32_e32 v24, 3, v24
	v_add3_u32 v103, 0, v24, v211
	ds_write2_b64 v102, v[154:155], v[172:173] offset1:10
	ds_write2_b64 v102, v[179:180], v[149:150] offset0:20 offset1:30
	ds_write2_b64 v102, v[152:153], v[156:157] offset0:40 offset1:50
	ds_write2_b64 v102, v[176:177], v[181:182] offset0:60 offset1:70
	ds_write2_b64 v103, v[185:186], v[189:190] offset1:10
	ds_write2_b64 v103, v[193:194], v[197:198] offset0:20 offset1:30
	ds_write2_b64 v103, v[183:184], v[187:188] offset0:40 offset1:50
	;; [unrolled: 1-line block ×3, first 2 shown]
	s_and_saveexec_b64 s[2:3], s[0:1]
	s_cbranch_execz .LBB0_19
; %bb.18:
	v_mul_f64 v[24:25], v[20:21], v[48:49]
	v_fma_f64 v[6:7], v[6:7], 2.0, -v[120:121]
	v_fma_f64 v[64:65], v[64:65], 2.0, -v[132:133]
	v_mul_u32_u24_e32 v110, 0x50, v170
	v_or_b32_sdwa v110, v110, v171 dst_sel:DWORD dst_unused:UNUSED_PAD src0_sel:DWORD src1_sel:BYTE_0
	v_lshlrev_b32_e32 v110, 3, v110
	v_add3_u32 v110, 0, v110, v211
	v_fma_f64 v[24:25], v[0:1], v[46:47], -v[24:25]
	v_add_f64 v[24:25], v[4:5], -v[24:25]
	v_add_f64 v[50:51], v[24:25], -v[124:125]
	v_fma_f64 v[4:5], v[4:5], 2.0, -v[24:25]
	v_fma_f64 v[24:25], v[24:25], 2.0, -v[50:51]
	v_add_f64 v[6:7], v[4:5], -v[6:7]
	v_add_f64 v[94:95], v[50:51], v[142:143]
	v_add_f64 v[106:107], v[24:25], -v[140:141]
	v_fma_f64 v[4:5], v[4:5], 2.0, -v[6:7]
	v_add_f64 v[94:95], v[94:95], -v[146:147]
	v_add_f64 v[108:109], v[6:7], -v[134:135]
	;; [unrolled: 1-line block ×4, first 2 shown]
	v_fma_f64 v[50:51], v[50:51], 2.0, -v[94:95]
	v_fma_f64 v[6:7], v[6:7], 2.0, -v[108:109]
	;; [unrolled: 1-line block ×4, first 2 shown]
	ds_write2_b64 v110, v[6:7], v[50:51] offset0:20 offset1:30
	ds_write2_b64 v110, v[64:65], v[106:107] offset0:40 offset1:50
	ds_write2_b64 v110, v[4:5], v[24:25] offset1:10
	ds_write2_b64 v110, v[108:109], v[94:95] offset0:60 offset1:70
.LBB0_19:
	s_or_b64 exec, exec, s[2:3]
	v_mul_f64 v[4:5], v[10:11], v[34:35]
	v_mul_f64 v[6:7], v[12:13], v[38:39]
	;; [unrolled: 1-line block ×3, first 2 shown]
	v_fma_f64 v[12:13], v[54:55], 2.0, -v[40:41]
	v_fma_f64 v[14:15], v[22:23], 2.0, -v[60:61]
	;; [unrolled: 1-line block ×5, first 2 shown]
	v_fma_f64 v[4:5], v[26:27], v[32:33], v[4:5]
	v_fma_f64 v[6:7], v[28:29], v[36:37], v[6:7]
	;; [unrolled: 1-line block ×3, first 2 shown]
	v_fma_f64 v[28:29], v[62:63], 2.0, -v[126:127]
	s_waitcnt lgkmcnt(0)
	; wave barrier
	s_waitcnt lgkmcnt(0)
	v_add_f64 v[4:5], v[86:87], -v[4:5]
	v_add_f64 v[6:7], v[92:93], -v[6:7]
	;; [unrolled: 1-line block ×3, first 2 shown]
	v_fma_f64 v[26:27], v[86:87], 2.0, -v[4:5]
	v_add_f64 v[2:3], v[4:5], v[2:3]
	v_fma_f64 v[30:31], v[92:93], 2.0, -v[6:7]
	v_add_f64 v[32:33], v[6:7], v[80:81]
	;; [unrolled: 2-line block ×3, first 2 shown]
	v_add_f64 v[12:13], v[26:27], -v[12:13]
	v_fma_f64 v[4:5], v[4:5], 2.0, -v[2:3]
	v_add_f64 v[40:41], v[2:3], v[82:83]
	v_add_f64 v[22:23], v[30:31], -v[22:23]
	v_fma_f64 v[6:7], v[6:7], 2.0, -v[32:33]
	v_add_f64 v[42:43], v[32:33], v[122:123]
	v_add_f64 v[28:29], v[36:37], -v[28:29]
	v_fma_f64 v[10:11], v[10:11], 2.0, -v[38:39]
	v_add_f64 v[44:45], v[38:39], v[138:139]
	v_fma_f64 v[26:27], v[26:27], 2.0, -v[12:13]
	v_add_f64 v[50:51], v[4:5], -v[58:59]
	v_add_f64 v[68:69], v[78:79], v[40:41]
	v_fma_f64 v[30:31], v[30:31], 2.0, -v[22:23]
	v_add_f64 v[40:41], v[6:7], -v[100:101]
	v_add_f64 v[76:77], v[104:105], v[42:43]
	;; [unrolled: 3-line block ×3, first 2 shown]
	v_add_f64 v[74:75], v[22:23], v[70:71]
	v_add_f64 v[78:79], v[28:29], v[8:9]
	;; [unrolled: 1-line block ×3, first 2 shown]
	v_add_f64 v[82:83], v[26:27], -v[14:15]
	v_add_f64 v[84:85], v[56:57], v[50:51]
	v_add_f64 v[98:99], v[30:31], -v[24:25]
	v_add_f64 v[96:97], v[96:97], v[40:41]
	;; [unrolled: 2-line block ×3, first 2 shown]
	v_add_u32_e32 v15, 0x800, v208
	v_fma_f64 v[86:87], v[12:13], 2.0, -v[66:67]
	v_fma_f64 v[88:89], v[2:3], 2.0, -v[68:69]
	;; [unrolled: 1-line block ×12, first 2 shown]
	ds_read2_b64 v[10:13], v208 offset0:64 offset1:80
	ds_read2_b64 v[2:5], v208 offset0:160 offset1:176
	;; [unrolled: 1-line block ×6, first 2 shown]
	ds_read2_b64 v[38:41], v15 offset1:16
	ds_read2_b64 v[34:37], v15 offset0:160 offset1:176
	ds_read2_b64 v[62:65], v208 offset0:192 offset1:208
	;; [unrolled: 1-line block ×3, first 2 shown]
	v_add3_u32 v14, 0, v212, v211
	ds_read_b64 v[90:91], v207
	ds_read_b64 v[92:93], v209
	;; [unrolled: 1-line block ×4, first 2 shown]
	ds_read2_b64 v[42:45], v208 offset0:128 offset1:144
	ds_read2_b64 v[50:53], v15 offset0:32 offset1:48
	ds_read2_b64 v[54:57], v15 offset0:192 offset1:208
	s_waitcnt lgkmcnt(0)
	; wave barrier
	s_waitcnt lgkmcnt(0)
	ds_write2_b64 v148, v[110:111], v[112:113] offset1:10
	ds_write2_b64 v148, v[86:87], v[88:89] offset0:20 offset1:30
	ds_write2_b64 v148, v[82:83], v[84:85] offset0:40 offset1:50
	ds_write2_b64 v148, v[66:67], v[68:69] offset0:60 offset1:70
	ds_write2_b64 v102, v[114:115], v[116:117] offset1:10
	ds_write2_b64 v102, v[106:107], v[108:109] offset0:20 offset1:30
	ds_write2_b64 v102, v[98:99], v[96:97] offset0:40 offset1:50
	ds_write2_b64 v102, v[74:75], v[76:77] offset0:60 offset1:70
	;; [unrolled: 4-line block ×3, first 2 shown]
	s_and_saveexec_b64 s[2:3], s[0:1]
	s_cbranch_execz .LBB0_21
; %bb.20:
	v_mul_f64 v[0:1], v[0:1], v[48:49]
	v_fma_f64 v[18:19], v[18:19], 2.0, -v[124:125]
	v_fma_f64 v[0:1], v[20:21], v[46:47], v[0:1]
	v_fma_f64 v[46:47], v[72:73], 2.0, -v[134:135]
	v_add_f64 v[0:1], v[16:17], -v[0:1]
	v_fma_f64 v[15:16], v[16:17], 2.0, -v[0:1]
	v_add_f64 v[20:21], v[0:1], v[120:121]
	v_add_f64 v[17:18], v[15:16], -v[18:19]
	v_fma_f64 v[0:1], v[0:1], 2.0, -v[20:21]
	v_add_f64 v[48:49], v[20:21], v[146:147]
	v_fma_f64 v[15:16], v[15:16], 2.0, -v[17:18]
	v_add_f64 v[66:67], v[0:1], -v[144:145]
	v_add_f64 v[68:69], v[17:18], v[132:133]
	v_add_f64 v[48:49], v[142:143], v[48:49]
	v_add_f64 v[46:47], v[15:16], -v[46:47]
	v_add_f64 v[66:67], v[140:141], v[66:67]
	v_fma_f64 v[17:18], v[17:18], 2.0, -v[68:69]
	v_fma_f64 v[19:20], v[20:21], 2.0, -v[48:49]
	v_mul_u32_u24_e32 v21, 0x50, v170
	v_or_b32_sdwa v21, v21, v171 dst_sel:DWORD dst_unused:UNUSED_PAD src0_sel:DWORD src1_sel:BYTE_0
	v_lshlrev_b32_e32 v21, 3, v21
	v_add3_u32 v21, 0, v21, v211
	v_fma_f64 v[15:16], v[15:16], 2.0, -v[46:47]
	v_fma_f64 v[0:1], v[0:1], 2.0, -v[66:67]
	ds_write2_b64 v21, v[17:18], v[19:20] offset0:20 offset1:30
	ds_write2_b64 v21, v[46:47], v[66:67] offset0:40 offset1:50
	ds_write2_b64 v21, v[15:16], v[0:1] offset1:10
	ds_write2_b64 v21, v[68:69], v[48:49] offset0:60 offset1:70
.LBB0_21:
	s_or_b64 exec, exec, s[2:3]
	s_waitcnt lgkmcnt(0)
	; wave barrier
	s_waitcnt lgkmcnt(0)
	s_and_saveexec_b64 s[0:1], vcc
	s_cbranch_execz .LBB0_23
; %bb.22:
	v_or_b32_e32 v0, 64, v203
	v_mul_u32_u24_e32 v0, 5, v0
	v_lshlrev_b32_e32 v0, 4, v0
	global_load_dwordx4 v[15:18], v0, s[8:9] offset:1168
	global_load_dwordx4 v[46:49], v0, s[8:9] offset:1152
	;; [unrolled: 1-line block ×5, first 2 shown]
	v_mul_i32_i24_e32 v76, 5, v206
	v_mov_b32_e32 v77, 0
	v_lshlrev_b64 v[0:1], 4, v[76:77]
	v_mov_b32_e32 v184, s9
	v_add_co_u32_e32 v0, vcc, s8, v0
	v_addc_co_u32_e32 v1, vcc, v184, v1, vcc
	global_load_dwordx4 v[100:103], v[0:1], off offset:1136
	global_load_dwordx4 v[104:107], v[0:1], off offset:1168
	;; [unrolled: 1-line block ×5, first 2 shown]
	v_mul_i32_i24_e32 v76, 5, v205
	v_lshlrev_b64 v[19:20], 4, v[76:77]
	ds_read2_b64 v[72:75], v208 offset0:224 offset1:240
	v_add_u32_e32 v0, 0x800, v208
	ds_read2_b64 v[66:69], v208 offset0:64 offset1:80
	ds_read2_b64 v[120:123], v208 offset0:128 offset1:144
	;; [unrolled: 1-line block ×3, first 2 shown]
	ds_read_b64 v[160:161], v14
	ds_read_b64 v[162:163], v210
	ds_read2_b64 v[78:81], v0 offset0:128 offset1:144
	ds_read2_b64 v[128:131], v0 offset0:32 offset1:48
	;; [unrolled: 1-line block ×3, first 2 shown]
	v_add_co_u32_e32 v19, vcc, s8, v19
	v_addc_co_u32_e32 v20, vcc, v184, v20, vcc
	ds_read2_b64 v[136:139], v0 offset0:96 offset1:112
	global_load_dwordx4 v[140:143], v[19:20], off offset:1168
	global_load_dwordx4 v[144:147], v[19:20], off offset:1152
	;; [unrolled: 1-line block ×5, first 2 shown]
	s_mov_b32 s0, 0xe8584caa
	s_mov_b32 s1, 0x3febb67a
	s_mov_b32 s3, 0xbfebb67a
	s_mov_b32 s2, s0
	v_mul_i32_i24_e32 v76, 5, v204
	v_lshlrev_b64 v[76:77], 4, v[76:77]
	v_mul_u32_u24_e32 v1, 5, v203
	v_add_co_u32_e32 v76, vcc, s8, v76
	v_addc_co_u32_e32 v77, vcc, v184, v77, vcc
	v_lshlrev_b32_e32 v1, 4, v1
	s_waitcnt vmcnt(14) lgkmcnt(3)
	v_mul_f64 v[164:165], v[17:18], v[78:79]
	s_waitcnt vmcnt(13) lgkmcnt(2)
	v_mul_f64 v[168:169], v[48:49], v[130:131]
	s_waitcnt vmcnt(12)
	v_mul_f64 v[19:20], v[84:85], v[72:73]
	v_mul_f64 v[72:73], v[82:83], v[72:73]
	s_waitcnt vmcnt(10) lgkmcnt(1)
	v_mul_f64 v[170:171], v[98:99], v[134:135]
	v_mul_f64 v[130:131], v[46:47], v[130:131]
	;; [unrolled: 1-line block ×6, first 2 shown]
	s_waitcnt vmcnt(8) lgkmcnt(0)
	v_mul_f64 v[176:177], v[106:107], v[138:139]
	v_fma_f64 v[19:20], v[22:23], v[82:83], -v[19:20]
	v_fma_f64 v[21:22], v[22:23], v[84:85], v[72:73]
	v_fma_f64 v[46:47], v[52:53], v[46:47], -v[168:169]
	v_fma_f64 v[72:73], v[56:57], v[96:97], -v[170:171]
	v_fma_f64 v[48:49], v[52:53], v[48:49], v[130:131]
	v_fma_f64 v[52:53], v[56:57], v[98:99], v[134:135]
	v_mul_f64 v[172:173], v[102:103], v[126:127]
	v_mul_f64 v[126:127], v[100:101], v[126:127]
	;; [unrolled: 1-line block ×3, first 2 shown]
	v_fma_f64 v[14:15], v[26:27], v[15:16], -v[164:165]
	v_fma_f64 v[16:17], v[26:27], v[17:18], v[78:79]
	v_fma_f64 v[26:27], v[44:45], v[86:87], -v[166:167]
	v_fma_f64 v[44:45], v[44:45], v[88:89], v[122:123]
	v_fma_f64 v[82:83], v[60:61], v[104:105], -v[176:177]
	v_add_f64 v[98:99], v[46:47], v[72:73]
	v_add_f64 v[104:105], v[48:49], v[52:53]
	s_waitcnt vmcnt(7)
	v_mul_f64 v[178:179], v[110:111], v[120:121]
	s_waitcnt vmcnt(6)
	v_mul_f64 v[180:181], v[114:115], v[128:129]
	;; [unrolled: 2-line block ×3, first 2 shown]
	v_mul_f64 v[128:129], v[112:113], v[128:129]
	v_mul_f64 v[132:133], v[116:117], v[132:133]
	;; [unrolled: 1-line block ×3, first 2 shown]
	v_fma_f64 v[78:79], v[64:65], v[100:101], -v[172:173]
	v_fma_f64 v[64:65], v[64:65], v[102:103], v[126:127]
	v_fma_f64 v[60:61], v[60:61], v[106:107], v[138:139]
	v_add_f64 v[56:57], v[21:22], v[16:17]
	v_add_f64 v[100:101], v[48:49], -v[52:53]
	v_add_f64 v[102:103], v[46:47], -v[72:73]
	v_add_f64 v[106:107], v[21:22], v[66:67]
	v_add_f64 v[48:49], v[44:45], v[48:49]
	;; [unrolled: 1-line block ×3, first 2 shown]
	v_fma_f64 v[44:45], v[104:105], -0.5, v[44:45]
	v_fma_f64 v[26:27], v[98:99], -0.5, v[26:27]
	v_fma_f64 v[84:85], v[42:43], v[108:109], -v[178:179]
	v_fma_f64 v[86:87], v[50:51], v[112:113], -v[180:181]
	;; [unrolled: 1-line block ×3, first 2 shown]
	v_fma_f64 v[50:51], v[50:51], v[114:115], v[128:129]
	v_fma_f64 v[54:55], v[54:55], v[118:119], v[132:133]
	;; [unrolled: 1-line block ×3, first 2 shown]
	v_add_f64 v[42:43], v[19:20], -v[14:15]
	v_add_f64 v[108:109], v[19:20], v[14:15]
	v_add_f64 v[21:22], v[21:22], -v[16:17]
	v_add_f64 v[18:19], v[10:11], v[19:20]
	v_fma_f64 v[56:57], v[56:57], -0.5, v[66:67]
	v_add_f64 v[66:67], v[16:17], v[106:107]
	v_add_f64 v[106:107], v[48:49], v[52:53]
	v_fma_f64 v[16:17], v[102:103], s[0:1], v[44:45]
	v_fma_f64 v[48:49], v[100:101], s[0:1], v[26:27]
	v_add_f64 v[112:113], v[64:65], v[60:61]
	v_add_f64 v[114:115], v[86:87], v[88:89]
	;; [unrolled: 1-line block ×3, first 2 shown]
	v_fma_f64 v[10:11], v[108:109], -0.5, v[10:11]
	v_fma_f64 v[26:27], v[100:101], s[2:3], v[26:27]
	v_fma_f64 v[44:45], v[102:103], s[2:3], v[44:45]
	v_add_f64 v[100:101], v[18:19], v[14:15]
	v_mul_f64 v[14:15], v[16:17], -0.5
	v_mul_f64 v[18:19], v[48:49], s[2:3]
	v_add_f64 v[116:117], v[50:51], -v[54:55]
	v_add_f64 v[98:99], v[86:87], -v[88:89]
	v_add_f64 v[72:73], v[46:47], v[72:73]
	v_fma_f64 v[102:103], v[112:113], -0.5, v[160:161]
	v_fma_f64 v[104:105], v[104:105], -0.5, v[96:97]
	v_mul_f64 v[46:47], v[26:27], -0.5
	v_mul_f64 v[52:53], v[44:45], s[0:1]
	v_fma_f64 v[108:109], v[42:43], s[0:1], v[56:57]
	v_fma_f64 v[56:57], v[42:43], s[2:3], v[56:57]
	;; [unrolled: 1-line block ×5, first 2 shown]
	v_fma_f64 v[26:27], v[44:45], 0.5, v[18:19]
	v_fma_f64 v[114:115], v[114:115], -0.5, v[84:85]
	v_fma_f64 v[46:47], v[16:17], s[0:1], v[46:47]
	v_fma_f64 v[118:119], v[48:49], 0.5, v[52:53]
	v_add_f64 v[44:45], v[66:67], -v[106:107]
	v_fma_f64 v[120:121], v[98:99], s[0:1], v[104:105]
	v_fma_f64 v[98:99], v[98:99], s[2:3], v[104:105]
	v_add_f64 v[16:17], v[108:109], -v[22:23]
	v_add_f64 v[20:21], v[56:57], -v[26:27]
	v_add_f64 v[48:49], v[108:109], v[22:23]
	v_add_f64 v[52:53], v[56:57], v[26:27]
	v_fma_f64 v[22:23], v[116:117], s[0:1], v[114:115]
	v_add_f64 v[56:57], v[66:67], v[106:107]
	v_fma_f64 v[66:67], v[116:117], s[2:3], v[114:115]
	v_add_f64 v[108:109], v[64:65], v[160:161]
	v_mul_f64 v[106:107], v[120:121], -0.5
	v_add_f64 v[50:51], v[96:97], v[50:51]
	v_add_f64 v[64:65], v[64:65], -v[60:61]
	v_add_f64 v[110:111], v[78:79], -v[82:83]
	v_mul_f64 v[104:105], v[22:23], s[2:3]
	v_add_f64 v[18:19], v[10:11], -v[118:119]
	v_mul_f64 v[96:97], v[66:67], -0.5
	v_add_f64 v[160:161], v[60:61], v[108:109]
	v_add_f64 v[60:61], v[70:71], v[78:79]
	v_fma_f64 v[132:133], v[66:67], s[2:3], v[106:107]
	v_mul_f64 v[66:67], v[98:99], s[0:1]
	v_add_f64 v[26:27], v[78:79], v[82:83]
	v_fma_f64 v[138:139], v[98:99], 0.5, v[104:105]
	ds_read2_b64 v[104:107], v0 offset0:160 offset1:176
	v_fma_f64 v[168:169], v[120:121], s[0:1], v[96:97]
	ds_read2_b64 v[96:99], v0 offset1:16
	v_add_f64 v[164:165], v[50:51], v[54:55]
	v_add_f64 v[50:51], v[10:11], v[118:119]
	;; [unrolled: 1-line block ×4, first 2 shown]
	s_waitcnt vmcnt(3) lgkmcnt(0)
	v_mul_f64 v[82:83], v[146:147], v[98:99]
	v_mul_f64 v[84:85], v[144:145], v[98:99]
	s_waitcnt vmcnt(0)
	v_mul_f64 v[86:87], v[156:157], v[106:107]
	v_add_f64 v[42:43], v[100:101], -v[72:73]
	v_add_f64 v[14:15], v[112:113], -v[46:47]
	v_add_f64 v[46:47], v[112:113], v[46:47]
	v_fma_f64 v[130:131], v[110:111], s[0:1], v[102:103]
	v_fma_f64 v[134:135], v[110:111], s[2:3], v[102:103]
	v_add_f64 v[54:55], v[100:101], v[72:73]
	global_load_dwordx4 v[100:103], v[76:77], off offset:1152
	global_load_dwordx4 v[108:111], v[76:77], off offset:1168
	;; [unrolled: 1-line block ×3, first 2 shown]
	ds_read2_b64 v[116:119], v208 offset0:96 offset1:112
	v_mul_f64 v[98:99], v[158:159], v[106:107]
	v_add_f64 v[106:107], v[60:61], v[88:89]
	v_fma_f64 v[170:171], v[40:41], v[144:145], -v[82:83]
	v_fma_f64 v[40:41], v[40:41], v[146:147], v[84:85]
	s_waitcnt lgkmcnt(0)
	v_mul_f64 v[60:61], v[154:155], v[118:119]
	v_mul_f64 v[82:83], v[152:153], v[118:119]
	v_fma_f64 v[86:87], v[36:37], v[158:159], v[86:87]
	v_fma_f64 v[26:27], v[26:27], -0.5, v[70:71]
	v_fma_f64 v[36:37], v[36:37], v[156:157], -v[98:99]
	v_fma_f64 v[22:23], v[22:23], 0.5, v[66:67]
	v_add_f64 v[66:67], v[130:131], -v[132:133]
	global_load_dwordx4 v[120:123], v[76:77], off offset:1120
	global_load_dwordx4 v[126:129], v[76:77], off offset:1136
	v_fma_f64 v[118:119], v[32:33], v[152:153], -v[60:61]
	v_fma_f64 v[32:33], v[32:33], v[154:155], v[82:83]
	v_add_f64 v[82:83], v[40:41], v[86:87]
	v_mul_f64 v[84:85], v[150:151], v[124:125]
	v_mul_f64 v[88:89], v[148:149], v[124:125]
	;; [unrolled: 1-line block ×3, first 2 shown]
	v_add_f64 v[124:125], v[170:171], v[36:37]
	v_add_f64 v[60:61], v[130:131], v[132:133]
	v_mul_f64 v[130:131], v[142:143], v[136:137]
	v_add_f64 v[132:133], v[170:171], -v[36:37]
	v_fma_f64 v[136:137], v[82:83], -0.5, v[32:33]
	v_fma_f64 v[166:167], v[64:65], s[2:3], v[26:27]
	v_fma_f64 v[26:27], v[64:65], s[0:1], v[26:27]
	v_add_f64 v[72:73], v[134:135], -v[138:139]
	v_fma_f64 v[158:159], v[62:63], v[148:149], -v[84:85]
	v_fma_f64 v[62:63], v[62:63], v[150:151], v[88:89]
	v_fma_f64 v[98:99], v[58:59], v[142:143], v[98:99]
	v_fma_f64 v[124:125], v[124:125], -0.5, v[118:119]
	v_add_f64 v[142:143], v[40:41], -v[86:87]
	v_add_f64 v[84:85], v[134:135], v[138:139]
	v_fma_f64 v[138:139], v[132:133], s[0:1], v[136:137]
	v_add_f64 v[70:71], v[26:27], -v[22:23]
	v_fma_f64 v[172:173], v[58:59], v[140:141], -v[130:131]
	v_add_f64 v[82:83], v[26:27], v[22:23]
	v_add_f64 v[130:131], v[62:63], v[98:99]
	v_add_f64 v[78:79], v[160:161], -v[164:165]
	v_fma_f64 v[22:23], v[142:143], s[0:1], v[124:125]
	v_fma_f64 v[124:125], v[142:143], s[2:3], v[124:125]
	v_mul_f64 v[140:141], v[138:139], -0.5
	v_add_f64 v[88:89], v[160:161], v[164:165]
	v_add_f64 v[26:27], v[158:159], -v[172:173]
	v_add_f64 v[134:135], v[158:159], v[172:173]
	v_fma_f64 v[130:131], v[130:131], -0.5, v[162:163]
	v_fma_f64 v[132:133], v[132:133], s[2:3], v[136:137]
	v_mul_f64 v[136:137], v[22:23], s[2:3]
	v_add_f64 v[32:33], v[32:33], v[40:41]
	v_fma_f64 v[164:165], v[124:125], s[2:3], v[140:141]
	v_mul_f64 v[124:125], v[124:125], -0.5
	v_add_f64 v[64:65], v[166:167], -v[168:169]
	v_add_f64 v[58:59], v[166:167], v[168:169]
	ds_read_b64 v[160:161], v209
	v_add_f64 v[142:143], v[62:63], v[162:163]
	v_fma_f64 v[40:41], v[134:135], -0.5, v[94:95]
	v_fma_f64 v[162:163], v[26:27], s[0:1], v[130:131]
	v_fma_f64 v[26:27], v[26:27], s[2:3], v[130:131]
	v_fma_f64 v[166:167], v[132:133], 0.5, v[136:137]
	v_add_f64 v[168:169], v[32:33], v[86:87]
	v_mul_f64 v[32:33], v[132:133], s[0:1]
	global_load_dwordx4 v[130:133], v1, s[8:9] offset:1168
	global_load_dwordx4 v[134:137], v1, s[8:9] offset:1152
	v_fma_f64 v[124:125], v[138:139], s[0:1], v[124:125]
	global_load_dwordx4 v[138:141], v1, s[8:9] offset:1184
	global_load_dwordx4 v[150:153], v1, s[8:9] offset:1136
	;; [unrolled: 1-line block ×3, first 2 shown]
	v_add_f64 v[62:63], v[62:63], -v[98:99]
	v_add_f64 v[76:77], v[10:11], -v[106:107]
	v_add_f64 v[86:87], v[10:11], v[106:107]
	v_fma_f64 v[22:23], v[22:23], 0.5, v[32:33]
	v_add_f64 v[158:159], v[94:95], v[158:159]
	v_add_f64 v[98:99], v[98:99], v[142:143]
	v_add_f64 v[144:145], v[162:163], -v[164:165]
	v_add_f64 v[148:149], v[26:27], -v[166:167]
	v_fma_f64 v[176:177], v[62:63], s[2:3], v[40:41]
	v_fma_f64 v[62:63], v[62:63], s[0:1], v[40:41]
	s_waitcnt vmcnt(9)
	v_mul_f64 v[32:33], v[102:103], v[96:97]
	v_mul_f64 v[40:41], v[100:101], v[96:97]
	s_waitcnt vmcnt(7)
	v_mul_f64 v[178:179], v[112:113], v[104:105]
	v_mul_f64 v[180:181], v[114:115], v[104:105]
	ds_read2_b64 v[94:97], v208 offset0:160 offset1:176
	ds_read2_b64 v[104:107], v0 offset0:64 offset1:80
	v_add_f64 v[10:11], v[98:99], -v[168:169]
	v_add_f64 v[146:147], v[62:63], -v[22:23]
	;; [unrolled: 1-line block ×3, first 2 shown]
	v_fma_f64 v[100:101], v[38:39], v[100:101], -v[32:33]
	v_fma_f64 v[38:39], v[38:39], v[102:103], v[40:41]
	v_fma_f64 v[102:103], v[34:35], v[114:115], v[178:179]
	v_fma_f64 v[112:113], v[34:35], v[112:113], -v[180:181]
	v_add_f64 v[34:35], v[118:119], v[170:171]
	v_add_f64 v[114:115], v[158:159], v[172:173]
	s_waitcnt vmcnt(6)
	v_mul_f64 v[0:1], v[122:123], v[116:117]
	v_mul_f64 v[32:33], v[120:121], v[116:117]
	s_waitcnt vmcnt(5) lgkmcnt(1)
	v_mul_f64 v[40:41], v[126:127], v[96:97]
	s_waitcnt lgkmcnt(0)
	v_mul_f64 v[116:117], v[108:109], v[106:107]
	v_add_f64 v[118:119], v[100:101], v[112:113]
	v_fma_f64 v[0:1], v[30:31], v[120:121], -v[0:1]
	v_fma_f64 v[30:31], v[30:31], v[122:123], v[32:33]
	v_add_f64 v[32:33], v[38:39], v[102:103]
	v_add_f64 v[120:121], v[34:35], v[36:37]
	v_mul_f64 v[34:35], v[128:129], v[96:97]
	v_mul_f64 v[36:37], v[110:111], v[106:107]
	v_fma_f64 v[96:97], v[4:5], v[128:129], v[40:41]
	v_fma_f64 v[106:107], v[8:9], v[110:111], v[116:117]
	v_add_f64 v[110:111], v[100:101], -v[112:113]
	v_fma_f64 v[118:119], v[118:119], -0.5, v[0:1]
	v_fma_f64 v[116:117], v[32:33], -0.5, v[30:31]
	v_add_f64 v[122:123], v[38:39], -v[102:103]
	v_fma_f64 v[126:127], v[4:5], v[126:127], -v[34:35]
	v_fma_f64 v[108:109], v[8:9], v[108:109], -v[36:37]
	v_add_f64 v[38:39], v[30:31], v[38:39]
	v_add_f64 v[8:9], v[114:115], -v[120:121]
	v_add_f64 v[4:5], v[96:97], v[106:107]
	v_add_f64 v[32:33], v[162:163], v[164:165]
	v_fma_f64 v[128:129], v[110:111], s[0:1], v[116:117]
	v_fma_f64 v[158:159], v[122:123], s[0:1], v[118:119]
	;; [unrolled: 1-line block ×3, first 2 shown]
	v_add_f64 v[118:119], v[96:97], v[160:161]
	v_add_f64 v[122:123], v[126:127], v[108:109]
	;; [unrolled: 1-line block ×3, first 2 shown]
	v_fma_f64 v[110:111], v[110:111], s[2:3], v[116:117]
	v_add_f64 v[102:103], v[38:39], v[102:103]
	v_mul_f64 v[98:99], v[128:129], -0.5
	v_mul_f64 v[116:117], v[158:159], s[2:3]
	v_mul_f64 v[164:165], v[34:35], -0.5
	v_add_f64 v[118:119], v[106:107], v[118:119]
	v_fma_f64 v[122:123], v[122:123], -0.5, v[92:93]
	v_add_f64 v[106:107], v[96:97], -v[106:107]
	v_add_f64 v[38:39], v[114:115], v[120:121]
	v_add_f64 v[0:1], v[0:1], v[100:101]
	v_fma_f64 v[98:99], v[34:35], s[2:3], v[98:99]
	v_fma_f64 v[116:117], v[110:111], 0.5, v[116:117]
	v_add_f64 v[34:35], v[62:63], v[22:23]
	v_mul_f64 v[22:23], v[110:111], s[0:1]
	v_fma_f64 v[110:111], v[128:129], s[0:1], v[164:165]
	v_fma_f64 v[62:63], v[106:107], s[2:3], v[122:123]
	;; [unrolled: 1-line block ×3, first 2 shown]
	v_add_f64 v[36:37], v[26:27], v[166:167]
	s_waitcnt vmcnt(3)
	v_mul_f64 v[114:115], v[134:135], v[74:75]
	v_mul_f64 v[74:75], v[136:137], v[74:75]
	s_waitcnt vmcnt(2)
	v_mul_f64 v[120:121], v[138:139], v[80:81]
	v_mul_f64 v[80:81], v[140:141], v[80:81]
	;; [unrolled: 3-line block ×3, first 2 shown]
	v_mul_f64 v[128:129], v[68:69], v[156:157]
	v_add_f64 v[26:27], v[126:127], -v[108:109]
	v_add_f64 v[92:93], v[92:93], v[126:127]
	v_fma_f64 v[74:75], v[24:25], v[134:135], -v[74:75]
	v_fma_f64 v[120:121], v[28:29], v[140:141], v[120:121]
	v_fma_f64 v[28:29], v[28:29], v[138:139], -v[80:81]
	v_fma_f64 v[114:115], v[24:25], v[136:137], v[114:115]
	v_mul_f64 v[126:127], v[130:131], v[104:105]
	v_mul_f64 v[24:25], v[94:95], v[152:153]
	v_fma_f64 v[68:69], v[154:155], v[68:69], v[100:101]
	v_mul_f64 v[100:101], v[132:133], v[104:105]
	v_fma_f64 v[122:123], v[150:151], v[94:95], v[122:123]
	v_fma_f64 v[12:13], v[12:13], v[154:155], -v[128:129]
	v_add_f64 v[94:95], v[74:75], v[28:29]
	v_fma_f64 v[4:5], v[4:5], -0.5, v[160:161]
	v_add_f64 v[80:81], v[114:115], v[120:121]
	v_fma_f64 v[126:127], v[6:7], v[132:133], v[126:127]
	v_add_f64 v[30:31], v[176:177], v[124:125]
	v_fma_f64 v[6:7], v[6:7], v[130:131], -v[100:101]
	v_add_f64 v[130:131], v[114:115], -v[120:121]
	v_add_f64 v[128:129], v[74:75], -v[28:29]
	v_fma_f64 v[104:105], v[94:95], -0.5, v[12:13]
	v_fma_f64 v[124:125], v[26:27], s[0:1], v[4:5]
	v_fma_f64 v[80:81], v[80:81], -0.5, v[68:69]
	v_add_f64 v[0:1], v[0:1], v[112:113]
	v_fma_f64 v[112:113], v[2:3], v[150:151], -v[24:25]
	v_fma_f64 v[160:161], v[26:27], s[2:3], v[4:5]
	v_add_f64 v[96:97], v[118:119], -v[102:103]
	v_add_f64 v[108:109], v[92:93], v[108:109]
	v_fma_f64 v[136:137], v[130:131], s[2:3], v[104:105]
	v_fma_f64 v[130:131], v[130:131], s[0:1], v[104:105]
	v_add_f64 v[4:5], v[124:125], -v[98:99]
	v_add_f64 v[92:93], v[122:123], v[126:127]
	v_add_f64 v[2:3], v[62:63], -v[110:111]
	v_fma_f64 v[132:133], v[128:129], s[0:1], v[80:81]
	v_add_f64 v[100:101], v[124:125], v[98:99]
	v_add_f64 v[104:105], v[118:119], v[102:103]
	;; [unrolled: 1-line block ×4, first 2 shown]
	v_fma_f64 v[80:81], v[128:129], s[2:3], v[80:81]
	v_mul_f64 v[102:103], v[130:131], s[2:3]
	ds_read_b64 v[162:163], v207
	v_add_f64 v[26:27], v[160:161], -v[116:117]
	v_add_f64 v[124:125], v[112:113], -v[6:7]
	v_mul_f64 v[138:139], v[132:133], -0.5
	v_add_f64 v[68:69], v[68:69], v[114:115]
	s_waitcnt lgkmcnt(0)
	v_fma_f64 v[134:135], v[92:93], -0.5, v[162:163]
	v_add_f64 v[92:93], v[160:161], v[116:117]
	v_add_f64 v[110:111], v[122:123], v[162:163]
	v_fma_f64 v[62:63], v[62:63], -0.5, v[90:91]
	v_add_f64 v[114:115], v[122:123], -v[126:127]
	v_mul_f64 v[116:117], v[136:137], -0.5
	v_fma_f64 v[122:123], v[80:81], 0.5, v[102:103]
	v_mul_f64 v[80:81], v[80:81], s[0:1]
	v_add_f64 v[90:91], v[90:91], v[112:113]
	v_add_f64 v[12:13], v[12:13], v[74:75]
	v_fma_f64 v[22:23], v[158:159], 0.5, v[22:23]
	v_fma_f64 v[118:119], v[124:125], s[0:1], v[134:135]
	v_fma_f64 v[128:129], v[136:137], s[2:3], v[138:139]
	;; [unrolled: 1-line block ×3, first 2 shown]
	v_add_f64 v[74:75], v[126:127], v[110:111]
	v_add_f64 v[68:69], v[68:69], v[120:121]
	v_fma_f64 v[126:127], v[114:115], s[2:3], v[62:63]
	v_fma_f64 v[132:133], v[132:133], s[0:1], v[116:117]
	;; [unrolled: 1-line block ×3, first 2 shown]
	v_fma_f64 v[80:81], v[130:131], 0.5, v[80:81]
	v_add_f64 v[6:7], v[90:91], v[6:7]
	v_add_f64 v[12:13], v[12:13], v[28:29]
	v_add_f64 v[24:25], v[106:107], -v[22:23]
	v_add_f64 v[94:95], v[108:109], -v[0:1]
	v_add_f64 v[90:91], v[106:107], v[22:23]
	v_add_f64 v[102:103], v[108:109], v[0:1]
	v_add_f64 v[108:109], v[118:119], -v[128:129]
	v_add_f64 v[112:113], v[124:125], -v[122:123]
	v_add_f64 v[106:107], v[126:127], -v[132:133]
	v_add_f64 v[110:111], v[62:63], -v[80:81]
	v_add_f64 v[120:121], v[118:119], v[128:129]
	v_add_f64 v[128:129], v[74:75], v[68:69]
	;; [unrolled: 1-line block ×6, first 2 shown]
	v_add_f64 v[114:115], v[6:7], -v[12:13]
	v_mov_b32_e32 v0, s13
	v_add_co_u32_e32 v12, vcc, s12, v174
	v_add_f64 v[116:117], v[74:75], -v[68:69]
	v_addc_co_u32_e32 v13, vcc, v0, v175, vcc
	v_add_co_u32_e32 v0, vcc, v12, v202
	v_addc_co_u32_e32 v1, vcc, 0, v13, vcc
	s_movk_i32 s0, 0x1000
	v_add_co_u32_e32 v6, vcc, s0, v0
	v_addc_co_u32_e32 v7, vcc, 0, v1, vcc
	global_store_dwordx4 v[0:1], v[126:129], off
	global_store_dwordx4 v[0:1], v[122:125], off offset:1280
	global_store_dwordx4 v[0:1], v[118:121], off offset:2560
	;; [unrolled: 1-line block ×8, first 2 shown]
	v_or_b32_e32 v6, 0x1000, v202
	v_add_co_u32_e32 v6, vcc, v12, v6
	v_addc_co_u32_e32 v7, vcc, 0, v13, vcc
	global_store_dwordx4 v[6:7], v[94:97], off
	v_or_b32_e32 v6, 0x1500, v202
	v_add_co_u32_e32 v6, vcc, v12, v6
	v_addc_co_u32_e32 v7, vcc, 0, v13, vcc
	global_store_dwordx4 v[6:7], v[24:27], off
	v_or_b32_e32 v6, 0x1a00, v202
	v_add_co_u32_e32 v6, vcc, v12, v6
	v_addc_co_u32_e32 v7, vcc, 0, v13, vcc
	global_store_dwordx4 v[6:7], v[2:5], off
	global_store_dwordx4 v[0:1], v[38:41], off offset:512
	global_store_dwordx4 v[0:1], v[34:37], off offset:1792
	global_store_dwordx4 v[0:1], v[30:33], off offset:3072
	v_or_b32_e32 v2, 0x1100, v202
	v_add_co_u32_e32 v2, vcc, v12, v2
	v_addc_co_u32_e32 v3, vcc, 0, v13, vcc
	global_store_dwordx4 v[2:3], v[8:11], off
	v_or_b32_e32 v2, 0x1600, v202
	v_add_co_u32_e32 v2, vcc, v12, v2
	v_addc_co_u32_e32 v3, vcc, 0, v13, vcc
	global_store_dwordx4 v[2:3], v[146:149], off
	v_or_b32_e32 v2, 0x1b00, v202
	v_add_co_u32_e32 v2, vcc, v12, v2
	v_addc_co_u32_e32 v3, vcc, 0, v13, vcc
	global_store_dwordx4 v[2:3], v[142:145], off
	global_store_dwordx4 v[0:1], v[86:89], off offset:768
	global_store_dwordx4 v[0:1], v[82:85], off offset:2048
	global_store_dwordx4 v[0:1], v[58:61], off offset:3328
	;; [unrolled: 15-line block ×3, first 2 shown]
	v_or_b32_e32 v0, 0x1300, v202
	v_add_co_u32_e32 v0, vcc, v12, v0
	v_addc_co_u32_e32 v1, vcc, 0, v13, vcc
	global_store_dwordx4 v[0:1], v[42:45], off
	v_or_b32_e32 v0, 0x1800, v202
	v_add_co_u32_e32 v0, vcc, v12, v0
	v_addc_co_u32_e32 v1, vcc, 0, v13, vcc
	global_store_dwordx4 v[0:1], v[18:21], off
	;; [unrolled: 4-line block ×3, first 2 shown]
.LBB0_23:
	s_endpgm
	.section	.rodata,"a",@progbits
	.p2align	6, 0x0
	.amdhsa_kernel fft_rtc_fwd_len480_factors_10_8_6_wgs_64_tpt_16_halfLds_dp_ip_CI_unitstride_sbrr_dirReg
		.amdhsa_group_segment_fixed_size 0
		.amdhsa_private_segment_fixed_size 0
		.amdhsa_kernarg_size 88
		.amdhsa_user_sgpr_count 6
		.amdhsa_user_sgpr_private_segment_buffer 1
		.amdhsa_user_sgpr_dispatch_ptr 0
		.amdhsa_user_sgpr_queue_ptr 0
		.amdhsa_user_sgpr_kernarg_segment_ptr 1
		.amdhsa_user_sgpr_dispatch_id 0
		.amdhsa_user_sgpr_flat_scratch_init 0
		.amdhsa_user_sgpr_private_segment_size 0
		.amdhsa_uses_dynamic_stack 0
		.amdhsa_system_sgpr_private_segment_wavefront_offset 0
		.amdhsa_system_sgpr_workgroup_id_x 1
		.amdhsa_system_sgpr_workgroup_id_y 0
		.amdhsa_system_sgpr_workgroup_id_z 0
		.amdhsa_system_sgpr_workgroup_info 0
		.amdhsa_system_vgpr_workitem_id 0
		.amdhsa_next_free_vgpr 225
		.amdhsa_next_free_sgpr 22
		.amdhsa_reserve_vcc 1
		.amdhsa_reserve_flat_scratch 0
		.amdhsa_float_round_mode_32 0
		.amdhsa_float_round_mode_16_64 0
		.amdhsa_float_denorm_mode_32 3
		.amdhsa_float_denorm_mode_16_64 3
		.amdhsa_dx10_clamp 1
		.amdhsa_ieee_mode 1
		.amdhsa_fp16_overflow 0
		.amdhsa_exception_fp_ieee_invalid_op 0
		.amdhsa_exception_fp_denorm_src 0
		.amdhsa_exception_fp_ieee_div_zero 0
		.amdhsa_exception_fp_ieee_overflow 0
		.amdhsa_exception_fp_ieee_underflow 0
		.amdhsa_exception_fp_ieee_inexact 0
		.amdhsa_exception_int_div_zero 0
	.end_amdhsa_kernel
	.text
.Lfunc_end0:
	.size	fft_rtc_fwd_len480_factors_10_8_6_wgs_64_tpt_16_halfLds_dp_ip_CI_unitstride_sbrr_dirReg, .Lfunc_end0-fft_rtc_fwd_len480_factors_10_8_6_wgs_64_tpt_16_halfLds_dp_ip_CI_unitstride_sbrr_dirReg
                                        ; -- End function
	.section	.AMDGPU.csdata,"",@progbits
; Kernel info:
; codeLenInByte = 13788
; NumSgprs: 26
; NumVgprs: 225
; ScratchSize: 0
; MemoryBound: 1
; FloatMode: 240
; IeeeMode: 1
; LDSByteSize: 0 bytes/workgroup (compile time only)
; SGPRBlocks: 3
; VGPRBlocks: 56
; NumSGPRsForWavesPerEU: 26
; NumVGPRsForWavesPerEU: 225
; Occupancy: 1
; WaveLimiterHint : 1
; COMPUTE_PGM_RSRC2:SCRATCH_EN: 0
; COMPUTE_PGM_RSRC2:USER_SGPR: 6
; COMPUTE_PGM_RSRC2:TRAP_HANDLER: 0
; COMPUTE_PGM_RSRC2:TGID_X_EN: 1
; COMPUTE_PGM_RSRC2:TGID_Y_EN: 0
; COMPUTE_PGM_RSRC2:TGID_Z_EN: 0
; COMPUTE_PGM_RSRC2:TIDIG_COMP_CNT: 0
	.type	__hip_cuid_d5e793b663a5df3f,@object ; @__hip_cuid_d5e793b663a5df3f
	.section	.bss,"aw",@nobits
	.globl	__hip_cuid_d5e793b663a5df3f
__hip_cuid_d5e793b663a5df3f:
	.byte	0                               ; 0x0
	.size	__hip_cuid_d5e793b663a5df3f, 1

	.ident	"AMD clang version 19.0.0git (https://github.com/RadeonOpenCompute/llvm-project roc-6.4.0 25133 c7fe45cf4b819c5991fe208aaa96edf142730f1d)"
	.section	".note.GNU-stack","",@progbits
	.addrsig
	.addrsig_sym __hip_cuid_d5e793b663a5df3f
	.amdgpu_metadata
---
amdhsa.kernels:
  - .args:
      - .actual_access:  read_only
        .address_space:  global
        .offset:         0
        .size:           8
        .value_kind:     global_buffer
      - .offset:         8
        .size:           8
        .value_kind:     by_value
      - .actual_access:  read_only
        .address_space:  global
        .offset:         16
        .size:           8
        .value_kind:     global_buffer
      - .actual_access:  read_only
        .address_space:  global
        .offset:         24
        .size:           8
        .value_kind:     global_buffer
      - .offset:         32
        .size:           8
        .value_kind:     by_value
      - .actual_access:  read_only
        .address_space:  global
        .offset:         40
        .size:           8
        .value_kind:     global_buffer
      - .actual_access:  read_only
        .address_space:  global
        .offset:         48
        .size:           8
        .value_kind:     global_buffer
      - .offset:         56
        .size:           4
        .value_kind:     by_value
      - .actual_access:  read_only
        .address_space:  global
        .offset:         64
        .size:           8
        .value_kind:     global_buffer
      - .actual_access:  read_only
        .address_space:  global
        .offset:         72
        .size:           8
        .value_kind:     global_buffer
      - .address_space:  global
        .offset:         80
        .size:           8
        .value_kind:     global_buffer
    .group_segment_fixed_size: 0
    .kernarg_segment_align: 8
    .kernarg_segment_size: 88
    .language:       OpenCL C
    .language_version:
      - 2
      - 0
    .max_flat_workgroup_size: 64
    .name:           fft_rtc_fwd_len480_factors_10_8_6_wgs_64_tpt_16_halfLds_dp_ip_CI_unitstride_sbrr_dirReg
    .private_segment_fixed_size: 0
    .sgpr_count:     26
    .sgpr_spill_count: 0
    .symbol:         fft_rtc_fwd_len480_factors_10_8_6_wgs_64_tpt_16_halfLds_dp_ip_CI_unitstride_sbrr_dirReg.kd
    .uniform_work_group_size: 1
    .uses_dynamic_stack: false
    .vgpr_count:     225
    .vgpr_spill_count: 0
    .wavefront_size: 64
amdhsa.target:   amdgcn-amd-amdhsa--gfx906
amdhsa.version:
  - 1
  - 2
...

	.end_amdgpu_metadata
